;; amdgpu-corpus repo=ROCm/rocFFT kind=compiled arch=gfx1100 opt=O3
	.text
	.amdgcn_target "amdgcn-amd-amdhsa--gfx1100"
	.amdhsa_code_object_version 6
	.protected	fft_rtc_back_len1768_factors_17_13_8_wgs_136_tpt_136_halfLds_dp_op_CI_CI_unitstride_sbrr_dirReg ; -- Begin function fft_rtc_back_len1768_factors_17_13_8_wgs_136_tpt_136_halfLds_dp_op_CI_CI_unitstride_sbrr_dirReg
	.globl	fft_rtc_back_len1768_factors_17_13_8_wgs_136_tpt_136_halfLds_dp_op_CI_CI_unitstride_sbrr_dirReg
	.p2align	8
	.type	fft_rtc_back_len1768_factors_17_13_8_wgs_136_tpt_136_halfLds_dp_op_CI_CI_unitstride_sbrr_dirReg,@function
fft_rtc_back_len1768_factors_17_13_8_wgs_136_tpt_136_halfLds_dp_op_CI_CI_unitstride_sbrr_dirReg: ; @fft_rtc_back_len1768_factors_17_13_8_wgs_136_tpt_136_halfLds_dp_op_CI_CI_unitstride_sbrr_dirReg
; %bb.0:
	s_clause 0x2
	s_load_b128 s[4:7], s[0:1], 0x0
	s_load_b128 s[8:11], s[0:1], 0x58
	;; [unrolled: 1-line block ×3, first 2 shown]
	v_mul_u32_u24_e32 v1, 0x1e2, v0
	v_mov_b32_e32 v3, 0
	s_delay_alu instid0(VALU_DEP_2) | instskip(NEXT) | instid1(VALU_DEP_1)
	v_lshrrev_b32_e32 v1, 16, v1
	v_add_nc_u32_e32 v5, s15, v1
	v_mov_b32_e32 v1, 0
	v_mov_b32_e32 v2, 0
	;; [unrolled: 1-line block ×3, first 2 shown]
	s_waitcnt lgkmcnt(0)
	v_cmp_lt_u64_e64 s2, s[6:7], 2
	s_delay_alu instid0(VALU_DEP_1)
	s_and_b32 vcc_lo, exec_lo, s2
	s_cbranch_vccnz .LBB0_8
; %bb.1:
	s_load_b64 s[2:3], s[0:1], 0x10
	v_mov_b32_e32 v1, 0
	v_mov_b32_e32 v2, 0
	s_add_u32 s12, s18, 8
	s_addc_u32 s13, s19, 0
	s_add_u32 s14, s16, 8
	s_addc_u32 s15, s17, 0
	v_dual_mov_b32 v103, v2 :: v_dual_mov_b32 v102, v1
	s_mov_b64 s[22:23], 1
	s_waitcnt lgkmcnt(0)
	s_add_u32 s20, s2, 8
	s_addc_u32 s21, s3, 0
.LBB0_2:                                ; =>This Inner Loop Header: Depth=1
	s_load_b64 s[24:25], s[20:21], 0x0
                                        ; implicit-def: $vgpr104_vgpr105
	s_mov_b32 s2, exec_lo
	s_waitcnt lgkmcnt(0)
	v_or_b32_e32 v4, s25, v6
	s_delay_alu instid0(VALU_DEP_1)
	v_cmpx_ne_u64_e32 0, v[3:4]
	s_xor_b32 s3, exec_lo, s2
	s_cbranch_execz .LBB0_4
; %bb.3:                                ;   in Loop: Header=BB0_2 Depth=1
	v_cvt_f32_u32_e32 v4, s24
	v_cvt_f32_u32_e32 v7, s25
	s_sub_u32 s2, 0, s24
	s_subb_u32 s26, 0, s25
	s_delay_alu instid0(VALU_DEP_1) | instskip(NEXT) | instid1(VALU_DEP_1)
	v_fmac_f32_e32 v4, 0x4f800000, v7
	v_rcp_f32_e32 v4, v4
	s_waitcnt_depctr 0xfff
	v_mul_f32_e32 v4, 0x5f7ffffc, v4
	s_delay_alu instid0(VALU_DEP_1) | instskip(NEXT) | instid1(VALU_DEP_1)
	v_mul_f32_e32 v7, 0x2f800000, v4
	v_trunc_f32_e32 v7, v7
	s_delay_alu instid0(VALU_DEP_1) | instskip(SKIP_1) | instid1(VALU_DEP_2)
	v_fmac_f32_e32 v4, 0xcf800000, v7
	v_cvt_u32_f32_e32 v7, v7
	v_cvt_u32_f32_e32 v4, v4
	s_delay_alu instid0(VALU_DEP_2) | instskip(NEXT) | instid1(VALU_DEP_2)
	v_mul_lo_u32 v8, s2, v7
	v_mul_hi_u32 v9, s2, v4
	v_mul_lo_u32 v10, s26, v4
	s_delay_alu instid0(VALU_DEP_2) | instskip(SKIP_1) | instid1(VALU_DEP_2)
	v_add_nc_u32_e32 v8, v9, v8
	v_mul_lo_u32 v9, s2, v4
	v_add_nc_u32_e32 v8, v8, v10
	s_delay_alu instid0(VALU_DEP_2) | instskip(NEXT) | instid1(VALU_DEP_2)
	v_mul_hi_u32 v10, v4, v9
	v_mul_lo_u32 v11, v4, v8
	v_mul_hi_u32 v12, v4, v8
	v_mul_hi_u32 v13, v7, v9
	v_mul_lo_u32 v9, v7, v9
	v_mul_hi_u32 v14, v7, v8
	v_mul_lo_u32 v8, v7, v8
	v_add_co_u32 v10, vcc_lo, v10, v11
	v_add_co_ci_u32_e32 v11, vcc_lo, 0, v12, vcc_lo
	s_delay_alu instid0(VALU_DEP_2) | instskip(NEXT) | instid1(VALU_DEP_2)
	v_add_co_u32 v9, vcc_lo, v10, v9
	v_add_co_ci_u32_e32 v9, vcc_lo, v11, v13, vcc_lo
	v_add_co_ci_u32_e32 v10, vcc_lo, 0, v14, vcc_lo
	s_delay_alu instid0(VALU_DEP_2) | instskip(NEXT) | instid1(VALU_DEP_2)
	v_add_co_u32 v8, vcc_lo, v9, v8
	v_add_co_ci_u32_e32 v9, vcc_lo, 0, v10, vcc_lo
	s_delay_alu instid0(VALU_DEP_2) | instskip(NEXT) | instid1(VALU_DEP_2)
	v_add_co_u32 v4, vcc_lo, v4, v8
	v_add_co_ci_u32_e32 v7, vcc_lo, v7, v9, vcc_lo
	s_delay_alu instid0(VALU_DEP_2) | instskip(SKIP_1) | instid1(VALU_DEP_3)
	v_mul_hi_u32 v8, s2, v4
	v_mul_lo_u32 v10, s26, v4
	v_mul_lo_u32 v9, s2, v7
	s_delay_alu instid0(VALU_DEP_1) | instskip(SKIP_1) | instid1(VALU_DEP_2)
	v_add_nc_u32_e32 v8, v8, v9
	v_mul_lo_u32 v9, s2, v4
	v_add_nc_u32_e32 v8, v8, v10
	s_delay_alu instid0(VALU_DEP_2) | instskip(NEXT) | instid1(VALU_DEP_2)
	v_mul_hi_u32 v10, v4, v9
	v_mul_lo_u32 v11, v4, v8
	v_mul_hi_u32 v12, v4, v8
	v_mul_hi_u32 v13, v7, v9
	v_mul_lo_u32 v9, v7, v9
	v_mul_hi_u32 v14, v7, v8
	v_mul_lo_u32 v8, v7, v8
	v_add_co_u32 v10, vcc_lo, v10, v11
	v_add_co_ci_u32_e32 v11, vcc_lo, 0, v12, vcc_lo
	s_delay_alu instid0(VALU_DEP_2) | instskip(NEXT) | instid1(VALU_DEP_2)
	v_add_co_u32 v9, vcc_lo, v10, v9
	v_add_co_ci_u32_e32 v9, vcc_lo, v11, v13, vcc_lo
	v_add_co_ci_u32_e32 v10, vcc_lo, 0, v14, vcc_lo
	s_delay_alu instid0(VALU_DEP_2) | instskip(NEXT) | instid1(VALU_DEP_2)
	v_add_co_u32 v8, vcc_lo, v9, v8
	v_add_co_ci_u32_e32 v9, vcc_lo, 0, v10, vcc_lo
	s_delay_alu instid0(VALU_DEP_2) | instskip(NEXT) | instid1(VALU_DEP_2)
	v_add_co_u32 v4, vcc_lo, v4, v8
	v_add_co_ci_u32_e32 v13, vcc_lo, v7, v9, vcc_lo
	s_delay_alu instid0(VALU_DEP_2) | instskip(SKIP_1) | instid1(VALU_DEP_3)
	v_mul_hi_u32 v14, v5, v4
	v_mad_u64_u32 v[9:10], null, v6, v4, 0
	v_mad_u64_u32 v[7:8], null, v5, v13, 0
	;; [unrolled: 1-line block ×3, first 2 shown]
	s_delay_alu instid0(VALU_DEP_2) | instskip(NEXT) | instid1(VALU_DEP_3)
	v_add_co_u32 v4, vcc_lo, v14, v7
	v_add_co_ci_u32_e32 v7, vcc_lo, 0, v8, vcc_lo
	s_delay_alu instid0(VALU_DEP_2) | instskip(NEXT) | instid1(VALU_DEP_2)
	v_add_co_u32 v4, vcc_lo, v4, v9
	v_add_co_ci_u32_e32 v4, vcc_lo, v7, v10, vcc_lo
	v_add_co_ci_u32_e32 v7, vcc_lo, 0, v12, vcc_lo
	s_delay_alu instid0(VALU_DEP_2) | instskip(NEXT) | instid1(VALU_DEP_2)
	v_add_co_u32 v4, vcc_lo, v4, v11
	v_add_co_ci_u32_e32 v9, vcc_lo, 0, v7, vcc_lo
	s_delay_alu instid0(VALU_DEP_2) | instskip(SKIP_1) | instid1(VALU_DEP_3)
	v_mul_lo_u32 v10, s25, v4
	v_mad_u64_u32 v[7:8], null, s24, v4, 0
	v_mul_lo_u32 v11, s24, v9
	s_delay_alu instid0(VALU_DEP_2) | instskip(NEXT) | instid1(VALU_DEP_2)
	v_sub_co_u32 v7, vcc_lo, v5, v7
	v_add3_u32 v8, v8, v11, v10
	s_delay_alu instid0(VALU_DEP_1) | instskip(NEXT) | instid1(VALU_DEP_1)
	v_sub_nc_u32_e32 v10, v6, v8
	v_subrev_co_ci_u32_e64 v10, s2, s25, v10, vcc_lo
	v_add_co_u32 v11, s2, v4, 2
	s_delay_alu instid0(VALU_DEP_1) | instskip(SKIP_3) | instid1(VALU_DEP_3)
	v_add_co_ci_u32_e64 v12, s2, 0, v9, s2
	v_sub_co_u32 v13, s2, v7, s24
	v_sub_co_ci_u32_e32 v8, vcc_lo, v6, v8, vcc_lo
	v_subrev_co_ci_u32_e64 v10, s2, 0, v10, s2
	v_cmp_le_u32_e32 vcc_lo, s24, v13
	s_delay_alu instid0(VALU_DEP_3) | instskip(SKIP_1) | instid1(VALU_DEP_4)
	v_cmp_eq_u32_e64 s2, s25, v8
	v_cndmask_b32_e64 v13, 0, -1, vcc_lo
	v_cmp_le_u32_e32 vcc_lo, s25, v10
	v_cndmask_b32_e64 v14, 0, -1, vcc_lo
	v_cmp_le_u32_e32 vcc_lo, s24, v7
	;; [unrolled: 2-line block ×3, first 2 shown]
	v_cndmask_b32_e64 v15, 0, -1, vcc_lo
	v_cmp_eq_u32_e32 vcc_lo, s25, v10
	s_delay_alu instid0(VALU_DEP_2) | instskip(SKIP_3) | instid1(VALU_DEP_3)
	v_cndmask_b32_e64 v7, v15, v7, s2
	v_cndmask_b32_e32 v10, v14, v13, vcc_lo
	v_add_co_u32 v13, vcc_lo, v4, 1
	v_add_co_ci_u32_e32 v14, vcc_lo, 0, v9, vcc_lo
	v_cmp_ne_u32_e32 vcc_lo, 0, v10
	s_delay_alu instid0(VALU_DEP_2) | instskip(NEXT) | instid1(VALU_DEP_4)
	v_cndmask_b32_e32 v8, v14, v12, vcc_lo
	v_cndmask_b32_e32 v10, v13, v11, vcc_lo
	v_cmp_ne_u32_e32 vcc_lo, 0, v7
	s_delay_alu instid0(VALU_DEP_2)
	v_dual_cndmask_b32 v105, v9, v8 :: v_dual_cndmask_b32 v104, v4, v10
.LBB0_4:                                ;   in Loop: Header=BB0_2 Depth=1
	s_and_not1_saveexec_b32 s2, s3
	s_cbranch_execz .LBB0_6
; %bb.5:                                ;   in Loop: Header=BB0_2 Depth=1
	v_cvt_f32_u32_e32 v4, s24
	s_sub_i32 s3, 0, s24
	v_mov_b32_e32 v105, v3
	s_delay_alu instid0(VALU_DEP_2) | instskip(SKIP_2) | instid1(VALU_DEP_1)
	v_rcp_iflag_f32_e32 v4, v4
	s_waitcnt_depctr 0xfff
	v_mul_f32_e32 v4, 0x4f7ffffe, v4
	v_cvt_u32_f32_e32 v4, v4
	s_delay_alu instid0(VALU_DEP_1) | instskip(NEXT) | instid1(VALU_DEP_1)
	v_mul_lo_u32 v7, s3, v4
	v_mul_hi_u32 v7, v4, v7
	s_delay_alu instid0(VALU_DEP_1) | instskip(NEXT) | instid1(VALU_DEP_1)
	v_add_nc_u32_e32 v4, v4, v7
	v_mul_hi_u32 v4, v5, v4
	s_delay_alu instid0(VALU_DEP_1) | instskip(SKIP_1) | instid1(VALU_DEP_2)
	v_mul_lo_u32 v7, v4, s24
	v_add_nc_u32_e32 v8, 1, v4
	v_sub_nc_u32_e32 v7, v5, v7
	s_delay_alu instid0(VALU_DEP_1) | instskip(SKIP_1) | instid1(VALU_DEP_2)
	v_subrev_nc_u32_e32 v9, s24, v7
	v_cmp_le_u32_e32 vcc_lo, s24, v7
	v_dual_cndmask_b32 v7, v7, v9 :: v_dual_cndmask_b32 v4, v4, v8
	s_delay_alu instid0(VALU_DEP_1) | instskip(NEXT) | instid1(VALU_DEP_2)
	v_cmp_le_u32_e32 vcc_lo, s24, v7
	v_add_nc_u32_e32 v8, 1, v4
	s_delay_alu instid0(VALU_DEP_1)
	v_cndmask_b32_e32 v104, v4, v8, vcc_lo
.LBB0_6:                                ;   in Loop: Header=BB0_2 Depth=1
	s_or_b32 exec_lo, exec_lo, s2
	s_delay_alu instid0(VALU_DEP_1) | instskip(NEXT) | instid1(VALU_DEP_2)
	v_mul_lo_u32 v4, v105, s24
	v_mul_lo_u32 v9, v104, s25
	s_load_b64 s[2:3], s[14:15], 0x0
	v_mad_u64_u32 v[7:8], null, v104, s24, 0
	s_load_b64 s[24:25], s[12:13], 0x0
	s_add_u32 s22, s22, 1
	s_addc_u32 s23, s23, 0
	s_add_u32 s12, s12, 8
	s_addc_u32 s13, s13, 0
	s_add_u32 s14, s14, 8
	s_delay_alu instid0(VALU_DEP_1) | instskip(SKIP_3) | instid1(VALU_DEP_2)
	v_add3_u32 v4, v8, v9, v4
	v_sub_co_u32 v8, vcc_lo, v5, v7
	s_addc_u32 s15, s15, 0
	s_add_u32 s20, s20, 8
	v_sub_co_ci_u32_e32 v6, vcc_lo, v6, v4, vcc_lo
	s_addc_u32 s21, s21, 0
	s_waitcnt lgkmcnt(0)
	s_delay_alu instid0(VALU_DEP_1)
	v_mul_lo_u32 v9, s2, v6
	v_mul_lo_u32 v10, s3, v8
	v_mad_u64_u32 v[4:5], null, s2, v8, v[1:2]
	v_mul_lo_u32 v11, s24, v6
	v_mul_lo_u32 v12, s25, v8
	v_mad_u64_u32 v[6:7], null, s24, v8, v[102:103]
	v_cmp_ge_u64_e64 s2, s[22:23], s[6:7]
	v_add3_u32 v2, v10, v5, v9
	s_delay_alu instid0(VALU_DEP_3) | instskip(NEXT) | instid1(VALU_DEP_4)
	v_dual_mov_b32 v1, v4 :: v_dual_mov_b32 v102, v6
	v_add3_u32 v103, v12, v7, v11
	s_delay_alu instid0(VALU_DEP_4)
	s_and_b32 vcc_lo, exec_lo, s2
	s_cbranch_vccnz .LBB0_9
; %bb.7:                                ;   in Loop: Header=BB0_2 Depth=1
	v_dual_mov_b32 v5, v104 :: v_dual_mov_b32 v6, v105
	s_branch .LBB0_2
.LBB0_8:
	v_dual_mov_b32 v103, v2 :: v_dual_mov_b32 v102, v1
	v_dual_mov_b32 v105, v6 :: v_dual_mov_b32 v104, v5
.LBB0_9:
	s_load_b64 s[0:1], s[0:1], 0x28
	v_mul_hi_u32 v3, 0x1e1e1e2, v0
	s_lshl_b64 s[6:7], s[6:7], 3
                                        ; implicit-def: $vgpr56_vgpr57
                                        ; implicit-def: $vgpr60_vgpr61
                                        ; implicit-def: $vgpr64_vgpr65
                                        ; implicit-def: $vgpr68_vgpr69
                                        ; implicit-def: $vgpr40_vgpr41
                                        ; implicit-def: $vgpr32_vgpr33
                                        ; implicit-def: $vgpr28_vgpr29
                                        ; implicit-def: $vgpr20_vgpr21
                                        ; implicit-def: $vgpr12_vgpr13
                                        ; implicit-def: $vgpr16_vgpr17
                                        ; implicit-def: $vgpr24_vgpr25
                                        ; implicit-def: $vgpr36_vgpr37
                                        ; implicit-def: $vgpr48_vgpr49
                                        ; implicit-def: $vgpr52_vgpr53
                                        ; implicit-def: $vgpr72_vgpr73
                                        ; implicit-def: $vgpr76_vgpr77
                                        ; implicit-def: $vgpr44_vgpr45
	s_delay_alu instid0(SALU_CYCLE_1) | instskip(SKIP_1) | instid1(VALU_DEP_1)
	s_add_u32 s2, s18, s6
	s_addc_u32 s3, s19, s7
	v_mul_u32_u24_e32 v3, 0x88, v3
	s_delay_alu instid0(VALU_DEP_1) | instskip(SKIP_2) | instid1(VALU_DEP_2)
	v_sub_nc_u32_e32 v106, v0, v3
	s_waitcnt lgkmcnt(0)
	v_cmp_gt_u64_e32 vcc_lo, s[0:1], v[104:105]
	v_cmp_gt_u32_e64 s0, 0x68, v106
	s_delay_alu instid0(VALU_DEP_1) | instskip(NEXT) | instid1(SALU_CYCLE_1)
	s_and_b32 s1, vcc_lo, s0
	s_and_saveexec_b32 s12, s1
	s_cbranch_execz .LBB0_11
; %bb.10:
	s_add_u32 s6, s16, s6
	s_addc_u32 s7, s17, s7
	v_mov_b32_e32 v107, 0
	s_load_b64 s[6:7], s[6:7], 0x0
	s_waitcnt lgkmcnt(0)
	v_mul_lo_u32 v0, s7, v104
	v_mul_lo_u32 v5, s6, v105
	v_mad_u64_u32 v[3:4], null, s6, v104, 0
	s_delay_alu instid0(VALU_DEP_1) | instskip(SKIP_2) | instid1(VALU_DEP_3)
	v_add3_u32 v4, v4, v5, v0
	v_lshlrev_b64 v[0:1], 4, v[1:2]
	v_or_b32_e32 v2, 0x680, v106
	v_lshlrev_b64 v[3:4], 4, v[3:4]
	s_delay_alu instid0(VALU_DEP_1) | instskip(NEXT) | instid1(VALU_DEP_1)
	v_add_co_u32 v3, s1, s8, v3
	v_add_co_ci_u32_e64 v6, s1, s9, v4, s1
	v_lshlrev_b64 v[4:5], 4, v[106:107]
	s_delay_alu instid0(VALU_DEP_3) | instskip(NEXT) | instid1(VALU_DEP_1)
	v_add_co_u32 v16, s1, v3, v0
	v_add_co_ci_u32_e64 v17, s1, v6, v1, s1
	v_mov_b32_e32 v3, v107
	s_delay_alu instid0(VALU_DEP_3) | instskip(NEXT) | instid1(VALU_DEP_1)
	v_add_co_u32 v0, s1, v16, v4
	v_add_co_ci_u32_e64 v1, s1, v17, v5, s1
	s_delay_alu instid0(VALU_DEP_3) | instskip(NEXT) | instid1(VALU_DEP_3)
	v_lshlrev_b64 v[2:3], 4, v[2:3]
	v_add_co_u32 v4, s1, 0x1000, v0
	s_delay_alu instid0(VALU_DEP_1) | instskip(SKIP_1) | instid1(VALU_DEP_1)
	v_add_co_ci_u32_e64 v5, s1, 0, v1, s1
	v_add_co_u32 v6, s1, 0x2000, v0
	v_add_co_ci_u32_e64 v7, s1, 0, v1, s1
	v_add_co_u32 v8, s1, 0x3000, v0
	s_delay_alu instid0(VALU_DEP_1) | instskip(SKIP_1) | instid1(VALU_DEP_1)
	v_add_co_ci_u32_e64 v9, s1, 0, v1, s1
	v_add_co_u32 v10, s1, 0x4000, v0
	v_add_co_ci_u32_e64 v11, s1, 0, v1, s1
	v_add_co_u32 v12, s1, 0x5000, v0
	s_delay_alu instid0(VALU_DEP_1)
	v_add_co_ci_u32_e64 v13, s1, 0, v1, s1
	v_add_co_u32 v14, s1, 0x6000, v0
	s_clause 0xb
	global_load_b128 v[42:45], v[0:1], off
	global_load_b128 v[54:57], v[0:1], off offset:1664
	global_load_b128 v[74:77], v[0:1], off offset:3328
	global_load_b128 v[58:61], v[4:5], off offset:896
	global_load_b128 v[62:65], v[4:5], off offset:2560
	global_load_b128 v[70:73], v[6:7], off offset:128
	global_load_b128 v[66:69], v[6:7], off offset:1792
	global_load_b128 v[50:53], v[6:7], off offset:3456
	global_load_b128 v[46:49], v[8:9], off offset:1024
	global_load_b128 v[38:41], v[8:9], off offset:2688
	global_load_b128 v[34:37], v[10:11], off offset:256
	global_load_b128 v[30:33], v[10:11], off offset:1920
	v_add_co_ci_u32_e64 v15, s1, 0, v1, s1
	v_add_co_u32 v0, s1, v16, v2
	s_delay_alu instid0(VALU_DEP_1)
	v_add_co_ci_u32_e64 v1, s1, v17, v3, s1
	s_clause 0x4
	global_load_b128 v[26:29], v[10:11], off offset:3584
	global_load_b128 v[22:25], v[12:13], off offset:1152
	;; [unrolled: 1-line block ×4, first 2 shown]
	global_load_b128 v[10:13], v[0:1], off
.LBB0_11:
	s_or_b32 exec_lo, exec_lo, s12
	s_waitcnt vmcnt(0)
	v_add_f64 v[4:5], v[56:57], -v[12:13]
	s_mov_b32 s26, 0x2a9d6da3
	s_mov_b32 s24, 0x7c9e640b
	;; [unrolled: 1-line block ×6, first 2 shown]
	v_add_f64 v[78:79], v[54:55], v[10:11]
	v_add_f64 v[8:9], v[76:77], -v[16:17]
	s_mov_b32 s6, 0x75d4884
	s_mov_b32 s12, 0x2b2883cd
	;; [unrolled: 1-line block ×10, first 2 shown]
	v_add_f64 v[153:154], v[14:15], v[74:75]
	v_add_f64 v[129:130], v[60:61], -v[20:21]
	s_mov_b32 s18, 0x6ed5f1bb
	s_mov_b32 s28, 0x7faef3
	;; [unrolled: 1-line block ×8, first 2 shown]
	v_add_f64 v[155:156], v[58:59], v[18:19]
	v_add_f64 v[119:120], v[64:65], -v[24:25]
	s_mov_b32 s20, 0xc61f0d01
	s_mov_b32 s30, 0x5d8e7cdc
	s_mov_b32 s21, 0xbfd183b1
	s_mov_b32 s31, 0x3fd71e95
	v_add_f64 v[139:140], v[62:63], v[22:23]
	v_add_f64 v[113:114], v[72:73], -v[28:29]
	s_mov_b32 s50, 0x4363dd80
	v_mul_f64 v[84:85], v[4:5], s[26:27]
	v_mul_f64 v[86:87], v[4:5], s[24:25]
	;; [unrolled: 1-line block ×3, first 2 shown]
	s_mov_b32 s8, 0x370991
	s_mov_b32 s51, 0x3fe0d888
	;; [unrolled: 1-line block ×5, first 2 shown]
	v_mul_f64 v[141:142], v[8:9], s[22:23]
	v_mul_f64 v[143:144], v[8:9], s[46:47]
	;; [unrolled: 1-line block ×3, first 2 shown]
	v_add_f64 v[133:134], v[26:27], v[70:71]
	v_add_f64 v[100:101], v[68:69], -v[32:33]
	s_mov_b32 s14, 0x910ea3b9
	s_mov_b32 s15, 0xbfeb34fa
	;; [unrolled: 1-line block ×6, first 2 shown]
	v_add_f64 v[127:128], v[66:67], v[30:31]
	v_mul_f64 v[145:146], v[129:130], s[46:47]
	v_mul_f64 v[149:150], v[129:130], s[52:53]
	;; [unrolled: 1-line block ×3, first 2 shown]
	s_mov_b32 s43, 0x3feca52d
	s_mov_b32 s45, 0x3fe9895b
	;; [unrolled: 1-line block ×4, first 2 shown]
	v_add_f64 v[117:118], v[34:35], v[50:51]
	v_mul_f64 v[131:132], v[119:120], s[40:41]
	v_mul_f64 v[135:136], v[119:120], s[36:37]
	;; [unrolled: 1-line block ×5, first 2 shown]
	v_fma_f64 v[0:1], v[78:79], s[6:7], -v[84:85]
	v_fma_f64 v[2:3], v[78:79], s[12:13], -v[86:87]
	;; [unrolled: 1-line block ×3, first 2 shown]
	v_mul_f64 v[125:126], v[113:114], s[24:25]
	v_fma_f64 v[80:81], v[153:154], s[16:17], -v[141:142]
	v_fma_f64 v[82:83], v[153:154], s[18:19], -v[143:144]
	;; [unrolled: 1-line block ×3, first 2 shown]
	v_mul_f64 v[109:110], v[100:101], s[36:37]
	v_mul_f64 v[111:112], v[100:101], s[48:49]
	;; [unrolled: 1-line block ×3, first 2 shown]
	v_fma_f64 v[90:91], v[155:156], s[18:19], -v[145:146]
	v_fma_f64 v[92:93], v[155:156], s[28:29], -v[149:150]
	;; [unrolled: 1-line block ×4, first 2 shown]
	v_add_f64 v[0:1], v[0:1], v[42:43]
	v_add_f64 v[2:3], v[2:3], v[42:43]
	;; [unrolled: 1-line block ×3, first 2 shown]
	v_fma_f64 v[107:108], v[133:134], s[12:13], -v[125:126]
	v_fma_f64 v[159:160], v[127:128], s[20:21], -v[109:110]
	;; [unrolled: 1-line block ×4, first 2 shown]
	v_add_f64 v[0:1], v[80:81], v[0:1]
	v_add_f64 v[2:3], v[82:83], v[2:3]
	;; [unrolled: 1-line block ×3, first 2 shown]
	v_fma_f64 v[80:81], v[139:140], s[28:29], -v[131:132]
	v_fma_f64 v[88:89], v[139:140], s[20:21], -v[135:136]
	v_add_f64 v[82:83], v[52:53], -v[36:37]
	v_add_f64 v[0:1], v[90:91], v[0:1]
	v_add_f64 v[2:3], v[92:93], v[2:3]
	;; [unrolled: 1-line block ×3, first 2 shown]
	v_fma_f64 v[90:91], v[133:134], s[14:15], -v[121:122]
	v_fma_f64 v[92:93], v[133:134], s[6:7], -v[123:124]
	v_mul_f64 v[94:95], v[82:83], s[42:43]
	v_mul_f64 v[98:99], v[82:83], s[44:45]
	v_add_f64 v[0:1], v[80:81], v[0:1]
	v_add_f64 v[2:3], v[88:89], v[2:3]
	;; [unrolled: 1-line block ×3, first 2 shown]
	v_add_f64 v[80:81], v[48:49], -v[40:41]
	v_mul_f64 v[96:97], v[82:83], s[22:23]
	v_fma_f64 v[165:166], v[117:118], s[12:13], -v[94:95]
	v_fma_f64 v[169:170], v[117:118], s[18:19], -v[98:99]
	v_add_f64 v[0:1], v[90:91], v[0:1]
	v_add_f64 v[2:3], v[92:93], v[2:3]
	;; [unrolled: 1-line block ×4, first 2 shown]
	v_mul_f64 v[88:89], v[80:81], s[30:31]
	v_mul_f64 v[90:91], v[80:81], s[38:39]
	;; [unrolled: 1-line block ×3, first 2 shown]
	v_fma_f64 v[167:168], v[117:118], s[16:17], -v[96:97]
	v_add_f64 v[0:1], v[159:160], v[0:1]
	v_add_f64 v[2:3], v[161:162], v[2:3]
	;; [unrolled: 1-line block ×3, first 2 shown]
	v_fma_f64 v[159:160], v[107:108], s[8:9], -v[88:89]
	v_fma_f64 v[161:162], v[107:108], s[14:15], -v[90:91]
	v_fma_f64 v[163:164], v[107:108], s[6:7], -v[92:93]
	v_add_f64 v[0:1], v[165:166], v[0:1]
	v_add_f64 v[165:166], v[167:168], v[2:3]
	;; [unrolled: 1-line block ×3, first 2 shown]
	s_delay_alu instid0(VALU_DEP_3) | instskip(NEXT) | instid1(VALU_DEP_3)
	v_add_f64 v[2:3], v[159:160], v[0:1]
	v_add_f64 v[0:1], v[161:162], v[165:166]
	s_delay_alu instid0(VALU_DEP_3)
	v_add_f64 v[6:7], v[163:164], v[6:7]
	s_and_saveexec_b32 s1, s0
	s_cbranch_execz .LBB0_13
; %bb.12:
	v_add_f64 v[159:160], v[54:55], v[42:43]
	v_mul_f64 v[161:162], v[78:79], s[28:29]
	v_mul_f64 v[163:164], v[78:79], s[14:15]
	;; [unrolled: 1-line block ×8, first 2 shown]
	s_mov_b32 s55, 0xbfeec746
	s_mov_b32 s54, s36
	v_mul_f64 v[175:176], v[155:156], s[20:21]
	v_mul_f64 v[177:178], v[153:154], s[28:29]
	;; [unrolled: 1-line block ×13, first 2 shown]
	s_mov_b32 s57, 0x3fefdd0d
	s_mov_b32 s56, s22
	v_mul_f64 v[207:208], v[155:156], s[8:9]
	v_mul_f64 v[205:206], v[139:140], s[8:9]
	v_add_f64 v[159:160], v[74:75], v[159:160]
	v_fma_f64 v[181:182], v[4:5], s[52:53], v[161:162]
	v_fma_f64 v[161:162], v[4:5], s[40:41], v[161:162]
	;; [unrolled: 1-line block ×5, first 2 shown]
	v_add_f64 v[151:152], v[151:152], v[167:168]
	v_fma_f64 v[167:168], v[4:5], s[46:47], v[169:170]
	v_fma_f64 v[169:170], v[4:5], s[44:45], v[169:170]
	;; [unrolled: 1-line block ×3, first 2 shown]
	v_add_f64 v[86:87], v[86:87], v[171:172]
	v_add_f64 v[78:79], v[84:85], v[78:79]
	v_fma_f64 v[171:172], v[4:5], s[48:49], v[173:174]
	v_fma_f64 v[4:5], v[4:5], s[30:31], v[173:174]
	v_add_f64 v[157:158], v[157:158], v[175:176]
	v_add_f64 v[147:148], v[147:148], v[177:178]
	v_fma_f64 v[173:174], v[8:9], s[48:49], v[179:180]
	v_fma_f64 v[177:178], v[8:9], s[30:31], v[179:180]
	;; [unrolled: 1-line block ×4, first 2 shown]
	v_add_f64 v[149:150], v[149:150], v[191:192]
	v_add_f64 v[143:144], v[143:144], v[193:194]
	;; [unrolled: 1-line block ×4, first 2 shown]
	v_fma_f64 v[191:192], v[129:130], s[50:51], v[199:200]
	v_fma_f64 v[193:194], v[129:130], s[38:39], v[199:200]
	;; [unrolled: 1-line block ×7, first 2 shown]
	v_add_f64 v[137:138], v[137:138], v[205:206]
	v_add_f64 v[159:160], v[58:59], v[159:160]
	;; [unrolled: 1-line block ×6, first 2 shown]
	v_fma_f64 v[185:186], v[8:9], s[50:51], v[187:188]
	v_add_f64 v[189:190], v[189:190], v[42:43]
	v_add_f64 v[151:152], v[151:152], v[42:43]
	v_fma_f64 v[187:188], v[8:9], s[38:39], v[187:188]
	v_fma_f64 v[8:9], v[8:9], s[26:27], v[153:154]
	v_add_f64 v[153:154], v[167:168], v[42:43]
	v_add_f64 v[167:168], v[169:170], v[42:43]
	;; [unrolled: 1-line block ×7, first 2 shown]
	v_fma_f64 v[42:43], v[129:130], s[30:31], v[207:208]
	v_fma_f64 v[171:172], v[129:130], s[48:49], v[207:208]
	v_add_f64 v[159:160], v[62:63], v[159:160]
	v_add_f64 v[173:174], v[173:174], v[175:176]
	v_mul_f64 v[175:176], v[139:140], s[28:29]
	v_add_f64 v[161:162], v[177:178], v[161:162]
	v_mul_f64 v[177:178], v[139:140], s[6:7]
	;; [unrolled: 2-line block ×5, first 2 shown]
	v_add_f64 v[147:148], v[147:148], v[151:152]
	v_add_f64 v[151:152], v[201:202], v[153:154]
	;; [unrolled: 1-line block ×8, first 2 shown]
	v_mul_f64 v[141:142], v[133:134], s[12:13]
	v_mul_f64 v[143:144], v[133:134], s[6:7]
	;; [unrolled: 1-line block ×6, first 2 shown]
	v_add_f64 v[159:160], v[70:71], v[159:160]
	v_add_f64 v[173:174], v[191:192], v[173:174]
	;; [unrolled: 1-line block ×4, first 2 shown]
	v_fma_f64 v[175:176], v[119:120], s[34:35], v[177:178]
	v_add_f64 v[179:180], v[195:196], v[179:180]
	v_add_f64 v[163:164], v[197:198], v[163:164]
	v_fma_f64 v[201:202], v[119:120], s[50:51], v[183:184]
	v_fma_f64 v[183:184], v[119:120], s[38:39], v[183:184]
	;; [unrolled: 1-line block ×4, first 2 shown]
	v_add_f64 v[147:148], v[157:158], v[147:148]
	v_add_f64 v[151:152], v[171:172], v[151:152]
	;; [unrolled: 1-line block ×5, first 2 shown]
	v_mul_f64 v[145:146], v[127:128], s[8:9]
	v_mul_f64 v[149:150], v[127:128], s[20:21]
	;; [unrolled: 1-line block ×4, first 2 shown]
	v_add_f64 v[125:126], v[125:126], v[141:142]
	v_add_f64 v[123:124], v[123:124], v[143:144]
	;; [unrolled: 1-line block ×3, first 2 shown]
	v_fma_f64 v[141:142], v[113:114], s[44:45], v[169:170]
	v_fma_f64 v[143:144], v[113:114], s[46:47], v[169:170]
	;; [unrolled: 1-line block ×6, first 2 shown]
	v_add_f64 v[159:160], v[66:67], v[159:160]
	v_add_f64 v[137:138], v[137:138], v[147:148]
	;; [unrolled: 1-line block ×5, first 2 shown]
	v_mul_f64 v[131:132], v[117:118], s[16:17]
	v_add_f64 v[111:112], v[111:112], v[145:146]
	v_add_f64 v[109:110], v[109:110], v[149:150]
	v_fma_f64 v[145:146], v[100:101], s[42:43], v[157:158]
	v_add_f64 v[159:160], v[50:51], v[159:160]
	v_add_f64 v[125:126], v[125:126], v[137:138]
	;; [unrolled: 1-line block ×5, first 2 shown]
	v_mul_f64 v[121:122], v[107:108], s[16:17]
	v_add_f64 v[96:97], v[96:97], v[131:132]
	v_add_f64 v[84:85], v[46:47], v[159:160]
	v_mul_f64 v[159:160], v[155:156], s[6:7]
	v_mul_f64 v[155:156], v[155:156], s[12:13]
	v_add_f64 v[78:79], v[109:110], v[78:79]
	v_fma_f64 v[109:110], v[80:81], s[56:57], v[121:122]
	v_add_f64 v[84:85], v[38:39], v[84:85]
	v_fma_f64 v[207:208], v[129:130], s[26:27], v[159:160]
	v_fma_f64 v[159:160], v[129:130], s[34:35], v[159:160]
	v_fma_f64 v[209:210], v[129:130], s[42:43], v[155:156]
	v_fma_f64 v[129:130], v[129:130], s[24:25], v[155:156]
	v_mul_f64 v[155:156], v[139:140], s[20:21]
	v_mul_f64 v[139:140], v[139:140], s[16:17]
	v_add_f64 v[84:85], v[34:35], v[84:85]
	v_add_f64 v[153:154], v[207:208], v[165:166]
	;; [unrolled: 1-line block ×6, first 2 shown]
	v_fma_f64 v[155:156], v[119:120], s[26:27], v[177:178]
	v_fma_f64 v[177:178], v[119:120], s[46:47], v[181:182]
	;; [unrolled: 1-line block ×5, first 2 shown]
	v_mul_f64 v[139:140], v[133:134], s[28:29]
	v_mul_f64 v[133:134], v[133:134], s[20:21]
	v_mul_f64 v[129:130], v[127:128], s[14:15]
	v_mul_f64 v[165:166], v[127:128], s[28:29]
	v_mul_f64 v[185:186], v[127:128], s[16:17]
	v_mul_f64 v[127:128], v[127:128], s[18:19]
	v_add_f64 v[84:85], v[30:31], v[84:85]
	v_add_f64 v[151:152], v[203:204], v[153:154]
	;; [unrolled: 1-line block ×3, first 2 shown]
	v_mul_f64 v[153:154], v[117:118], s[20:21]
	v_add_f64 v[86:87], v[135:136], v[86:87]
	v_mul_f64 v[135:136], v[117:118], s[12:13]
	v_add_f64 v[163:164], v[181:182], v[163:164]
	v_add_f64 v[4:5], v[205:206], v[4:5]
	;; [unrolled: 1-line block ×3, first 2 shown]
	v_fma_f64 v[193:194], v[113:114], s[52:53], v[139:140]
	v_fma_f64 v[139:140], v[113:114], s[40:41], v[139:140]
	;; [unrolled: 1-line block ×4, first 2 shown]
	v_add_f64 v[133:134], v[155:156], v[173:174]
	v_add_f64 v[155:156], v[175:176], v[161:162]
	;; [unrolled: 1-line block ×3, first 2 shown]
	v_mul_f64 v[119:120], v[117:118], s[18:19]
	v_mul_f64 v[173:174], v[117:118], s[6:7]
	;; [unrolled: 1-line block ×5, first 2 shown]
	v_add_f64 v[115:116], v[115:116], v[129:130]
	v_fma_f64 v[129:130], v[100:101], s[24:25], v[157:158]
	v_fma_f64 v[149:150], v[100:101], s[52:53], v[165:166]
	;; [unrolled: 1-line block ×9, first 2 shown]
	v_add_f64 v[84:85], v[26:27], v[84:85]
	v_fma_f64 v[131:132], v[82:83], s[54:55], v[153:154]
	v_add_f64 v[86:87], v[123:124], v[86:87]
	v_mul_f64 v[123:124], v[107:108], s[20:21]
	v_add_f64 v[94:95], v[94:95], v[135:136]
	v_add_f64 v[147:148], v[193:194], v[151:152]
	;; [unrolled: 1-line block ×9, first 2 shown]
	v_mul_f64 v[113:114], v[107:108], s[14:15]
	v_mul_f64 v[151:152], v[107:108], s[12:13]
	;; [unrolled: 1-line block ×6, first 2 shown]
	v_add_f64 v[98:99], v[98:99], v[119:120]
	v_fma_f64 v[119:120], v[82:83], s[36:37], v[153:154]
	v_fma_f64 v[135:136], v[82:83], s[26:27], v[173:174]
	;; [unrolled: 1-line block ×9, first 2 shown]
	v_add_f64 v[115:116], v[115:116], v[125:126]
	v_add_f64 v[125:126], v[171:172], v[137:138]
	v_add_f64 v[42:43], v[165:166], v[42:43]
	v_add_f64 v[84:85], v[22:23], v[84:85]
	v_add_f64 v[86:87], v[111:112], v[86:87]
	v_fma_f64 v[111:112], v[80:81], s[36:37], v[123:124]
	v_add_f64 v[78:79], v[94:95], v[78:79]
	v_add_f64 v[137:138], v[179:180], v[147:148]
	;; [unrolled: 1-line block ×9, first 2 shown]
	v_fma_f64 v[100:101], v[80:81], s[22:23], v[121:122]
	v_fma_f64 v[121:122], v[80:81], s[54:55], v[123:124]
	;; [unrolled: 1-line block ×6, first 2 shown]
	v_add_f64 v[92:93], v[92:93], v[159:160]
	v_add_f64 v[90:91], v[90:91], v[113:114]
	v_fma_f64 v[113:114], v[80:81], s[52:53], v[107:108]
	v_fma_f64 v[80:81], v[80:81], s[40:41], v[107:108]
	v_add_f64 v[88:89], v[88:89], v[161:162]
	v_add_f64 v[98:99], v[98:99], v[115:116]
	;; [unrolled: 1-line block ×29, first 2 shown]
	v_mad_u32_u24 v82, 0x88, v106, 0
	ds_store_2addr_b64 v82, v[92:93], v[107:108] offset0:4 offset1:5
	ds_store_2addr_b64 v82, v[98:99], v[100:101] offset0:6 offset1:7
	;; [unrolled: 1-line block ×7, first 2 shown]
	ds_store_2addr_b64 v82, v[80:81], v[8:9] offset1:1
	ds_store_b64 v82, v[4:5] offset:128
.LBB0_13:
	s_or_b32 exec_lo, exec_lo, s1
	v_add_f64 v[155:156], v[54:55], -v[10:11]
	v_add_f64 v[151:152], v[74:75], -v[14:15]
	v_add_f64 v[145:146], v[56:57], v[12:13]
	v_add_f64 v[137:138], v[58:59], -v[18:19]
	v_add_f64 v[135:136], v[16:17], v[76:77]
	v_add_f64 v[125:126], v[60:61], v[20:21]
	v_add_f64 v[133:134], v[62:63], -v[22:23]
	v_add_f64 v[115:116], v[64:65], v[24:25]
	v_add_f64 v[123:124], v[70:71], -v[26:27]
	;; [unrolled: 2-line block ×3, first 2 shown]
	v_add_f64 v[70:71], v[50:51], -v[34:35]
	v_add_f64 v[50:51], v[46:47], -v[38:39]
	v_lshl_add_u32 v157, v106, 3, 0
	s_waitcnt lgkmcnt(0)
	s_barrier
	buffer_gl0_inv
	v_add_nc_u32_e32 v162, 0x800, v157
	v_add_nc_u32_e32 v161, 0x1000, v157
	;; [unrolled: 1-line block ×5, first 2 shown]
	v_mul_f64 v[149:150], v[155:156], s[26:27]
	v_mul_f64 v[147:148], v[155:156], s[24:25]
	;; [unrolled: 1-line block ×20, first 2 shown]
	v_fma_f64 v[4:5], v[145:146], s[6:7], v[149:150]
	v_fma_f64 v[8:9], v[145:146], s[12:13], v[147:148]
	;; [unrolled: 1-line block ×11, first 2 shown]
	v_add_f64 v[4:5], v[4:5], v[44:45]
	v_add_f64 v[8:9], v[8:9], v[44:45]
	;; [unrolled: 1-line block ×3, first 2 shown]
	s_delay_alu instid0(VALU_DEP_3) | instskip(NEXT) | instid1(VALU_DEP_3)
	v_add_f64 v[4:5], v[4:5], v[14:15]
	v_add_f64 v[8:9], v[8:9], v[18:19]
	s_delay_alu instid0(VALU_DEP_3)
	v_add_f64 v[10:11], v[10:11], v[22:23]
	v_fma_f64 v[14:15], v[115:116], s[28:29], v[117:118]
	v_fma_f64 v[18:19], v[115:116], s[20:21], v[119:120]
	;; [unrolled: 1-line block ×3, first 2 shown]
	v_add_f64 v[4:5], v[26:27], v[4:5]
	v_add_f64 v[8:9], v[42:43], v[8:9]
	;; [unrolled: 1-line block ×4, first 2 shown]
	v_fma_f64 v[26:27], v[74:75], s[14:15], v[107:108]
	v_mul_f64 v[42:43], v[70:71], s[22:23]
	v_add_f64 v[4:5], v[14:15], v[4:5]
	v_add_f64 v[8:9], v[18:19], v[8:9]
	;; [unrolled: 1-line block ×4, first 2 shown]
	v_fma_f64 v[14:15], v[54:55], s[20:21], v[58:59]
	v_fma_f64 v[78:79], v[54:55], s[8:9], v[62:63]
	;; [unrolled: 1-line block ×3, first 2 shown]
	v_add_f64 v[18:19], v[40:41], v[48:49]
	v_add_f64 v[4:5], v[26:27], v[4:5]
	;; [unrolled: 1-line block ×4, first 2 shown]
	v_mul_f64 v[26:27], v[50:51], s[30:31]
	v_mul_f64 v[30:31], v[50:51], s[38:39]
	;; [unrolled: 1-line block ×3, first 2 shown]
	v_fma_f64 v[82:83], v[22:23], s[12:13], v[38:39]
	v_fma_f64 v[84:85], v[22:23], s[16:17], v[42:43]
	;; [unrolled: 1-line block ×3, first 2 shown]
	v_add_f64 v[4:5], v[14:15], v[4:5]
	v_add_f64 v[8:9], v[78:79], v[8:9]
	v_add_f64 v[10:11], v[80:81], v[10:11]
	v_fma_f64 v[14:15], v[18:19], s[8:9], v[26:27]
	v_fma_f64 v[78:79], v[18:19], s[14:15], v[30:31]
	;; [unrolled: 1-line block ×3, first 2 shown]
	v_add_f64 v[4:5], v[82:83], v[4:5]
	v_add_f64 v[8:9], v[84:85], v[8:9]
	;; [unrolled: 1-line block ×3, first 2 shown]
	s_delay_alu instid0(VALU_DEP_3) | instskip(NEXT) | instid1(VALU_DEP_3)
	v_add_f64 v[10:11], v[14:15], v[4:5]
	v_add_f64 v[8:9], v[78:79], v[8:9]
	s_delay_alu instid0(VALU_DEP_3)
	v_add_f64 v[14:15], v[80:81], v[82:83]
	ds_load_2addr_b64 v[78:81], v157 offset1:136
	ds_load_2addr_b64 v[98:101], v162 offset0:16 offset1:152
	ds_load_2addr_b64 v[94:97], v161 offset0:32 offset1:168
	;; [unrolled: 1-line block ×5, first 2 shown]
	ds_load_b64 v[4:5], v157 offset:13056
	s_waitcnt lgkmcnt(0)
	s_barrier
	buffer_gl0_inv
	s_and_saveexec_b32 s33, s0
	s_cbranch_execz .LBB0_15
; %bb.14:
	v_add_f64 v[56:57], v[56:57], v[44:45]
	s_mov_b32 s0, 0x923c349f
	v_mul_f64 v[163:164], v[135:136], s[28:29]
	v_mul_f64 v[167:168], v[125:126], s[28:29]
	;; [unrolled: 1-line block ×3, first 2 shown]
	s_mov_b32 s1, 0xbfeec746
	s_mov_b32 s28, 0x6c9a05f6
	;; [unrolled: 1-line block ×5, first 2 shown]
	v_mul_f64 v[173:174], v[155:156], s[0:1]
	v_mul_f64 v[175:176], v[155:156], s[28:29]
	;; [unrolled: 1-line block ×4, first 2 shown]
	s_mov_b32 s38, 0x5d8e7cdc
	s_mov_b32 s39, 0xbfd71e95
	;; [unrolled: 1-line block ×3, first 2 shown]
	v_mul_f64 v[155:156], v[155:156], s[38:39]
	s_mov_b32 s44, 0x7c9e640b
	s_mov_b32 s23, 0xbfd183b1
	;; [unrolled: 1-line block ×17, first 2 shown]
	v_mul_f64 v[181:182], v[151:152], s[44:45]
	v_mul_f64 v[183:184], v[151:152], s[42:43]
	;; [unrolled: 1-line block ×3, first 2 shown]
	v_add_f64 v[56:57], v[76:77], v[56:57]
	v_mul_f64 v[76:77], v[135:136], s[18:19]
	s_mov_b32 s30, 0x370991
	s_mov_b32 s31, 0x3fedd6d0
	;; [unrolled: 1-line block ×10, first 2 shown]
	v_fma_f64 v[187:188], v[145:146], s[34:35], -v[177:178]
	v_fma_f64 v[189:190], v[145:146], s[26:27], -v[179:180]
	v_fma_f64 v[179:180], v[145:146], s[26:27], v[179:180]
	v_fma_f64 v[177:178], v[145:146], s[34:35], v[177:178]
	s_mov_b32 s54, s52
	v_fma_f64 v[191:192], v[145:146], s[30:31], -v[155:156]
	s_mov_b32 s37, 0x3fe7a5f6
	v_mul_f64 v[165:166], v[125:126], s[18:19]
	v_mul_f64 v[169:170], v[125:126], s[20:21]
	;; [unrolled: 1-line block ×3, first 2 shown]
	s_mov_b32 s59, 0x3fe9895b
	s_mov_b32 s58, s28
	v_mul_f64 v[201:202], v[133:134], s[56:57]
	v_mul_f64 v[199:200], v[133:134], s[46:47]
	v_mul_f64 v[203:204], v[133:134], s[58:59]
	v_add_f64 v[129:130], v[167:168], -v[129:130]
	v_add_f64 v[117:118], v[171:172], -v[117:118]
	v_fma_f64 v[195:196], v[135:136], s[22:23], -v[185:186]
	v_add_f64 v[56:57], v[60:61], v[56:57]
	v_mul_f64 v[60:61], v[145:146], s[6:7]
	v_add_f64 v[76:77], v[76:77], -v[141:142]
	v_fma_f64 v[185:186], v[135:136], s[22:23], v[185:186]
	v_add_f64 v[179:180], v[179:180], v[44:45]
	v_add_f64 v[177:178], v[177:178], v[44:45]
	v_add_f64 v[127:128], v[165:166], -v[127:128]
	v_add_f64 v[131:132], v[169:170], -v[131:132]
	v_fma_f64 v[205:206], v[125:126], s[42:43], -v[193:194]
	v_fma_f64 v[193:194], v[125:126], s[42:43], v[193:194]
	v_fma_f64 v[171:172], v[115:116], s[34:35], -v[199:200]
	v_add_f64 v[56:57], v[64:65], v[56:57]
	v_mul_f64 v[64:65], v[145:146], s[12:13]
	v_add_f64 v[60:61], v[60:61], -v[149:150]
	v_fma_f64 v[149:150], v[145:146], s[22:23], -v[173:174]
	v_fma_f64 v[173:174], v[145:146], s[22:23], v[173:174]
	v_add_f64 v[56:57], v[72:73], v[56:57]
	v_mul_f64 v[72:73], v[135:136], s[16:17]
	v_add_f64 v[60:61], v[60:61], v[44:45]
	v_add_f64 v[149:150], v[149:150], v[44:45]
	;; [unrolled: 1-line block ×4, first 2 shown]
	v_mul_f64 v[68:69], v[145:146], s[16:17]
	v_add_f64 v[72:73], v[72:73], -v[139:140]
	v_add_f64 v[139:140], v[163:164], -v[143:144]
	v_fma_f64 v[143:144], v[135:136], s[42:43], -v[181:182]
	v_fma_f64 v[163:164], v[135:136], s[42:43], v[181:182]
	v_fma_f64 v[181:182], v[135:136], s[34:35], -v[183:184]
	v_fma_f64 v[183:184], v[135:136], s[34:35], v[183:184]
	v_add_f64 v[52:53], v[52:53], v[56:57]
	v_add_f64 v[68:69], v[68:69], -v[153:154]
	v_mul_f64 v[56:57], v[151:152], s[52:53]
	v_mul_f64 v[151:152], v[151:152], s[50:51]
	v_fma_f64 v[153:154], v[145:146], s[24:25], -v[175:176]
	v_fma_f64 v[175:176], v[145:146], s[24:25], v[175:176]
	s_mov_b32 s50, 0x3259b75e
	s_mov_b32 s51, 0x3fb79ee6
	v_add_f64 v[60:61], v[60:61], v[72:73]
	v_add_f64 v[72:73], v[149:150], v[181:182]
	v_fma_f64 v[181:182], v[115:116], s[42:43], -v[201:202]
	v_add_f64 v[48:49], v[48:49], v[52:53]
	v_add_f64 v[52:53], v[64:65], -v[147:148]
	v_fma_f64 v[64:65], v[145:146], s[30:31], v[155:156]
	v_mul_f64 v[145:146], v[137:138], s[38:39]
	v_mul_f64 v[147:148], v[137:138], s[48:49]
	;; [unrolled: 1-line block ×4, first 2 shown]
	v_add_f64 v[68:69], v[68:69], v[44:45]
	v_fma_f64 v[141:142], v[135:136], s[36:37], -v[56:57]
	v_fma_f64 v[56:57], v[135:136], s[36:37], v[56:57]
	v_fma_f64 v[197:198], v[135:136], s[30:31], -v[151:152]
	v_fma_f64 v[135:136], v[135:136], s[30:31], v[151:152]
	v_add_f64 v[151:152], v[153:154], v[44:45]
	v_add_f64 v[153:154], v[175:176], v[44:45]
	;; [unrolled: 1-line block ×5, first 2 shown]
	v_mul_f64 v[191:192], v[133:134], s[48:49]
	v_mul_f64 v[133:134], v[133:134], s[54:55]
	s_mov_b32 s49, 0x3fefdd0d
	v_add_f64 v[60:61], v[127:128], v[60:61]
	v_add_f64 v[40:41], v[40:41], v[48:49]
	;; [unrolled: 1-line block ×4, first 2 shown]
	v_mul_f64 v[64:65], v[115:116], s[8:9]
	v_mul_f64 v[52:53], v[115:116], s[20:21]
	v_fma_f64 v[165:166], v[125:126], s[30:31], -v[145:146]
	v_fma_f64 v[207:208], v[125:126], s[36:37], -v[137:138]
	v_add_f64 v[68:69], v[68:69], v[139:140]
	v_fma_f64 v[145:146], v[125:126], s[30:31], v[145:146]
	v_fma_f64 v[167:168], v[125:126], s[50:51], -v[147:148]
	v_fma_f64 v[147:148], v[125:126], s[50:51], v[147:148]
	v_fma_f64 v[169:170], v[125:126], s[34:35], -v[155:156]
	v_fma_f64 v[155:156], v[125:126], s[34:35], v[155:156]
	v_fma_f64 v[125:126], v[125:126], s[36:37], v[137:138]
	v_add_f64 v[137:138], v[151:152], v[195:196]
	v_add_f64 v[139:140], v[153:154], v[185:186]
	v_add_f64 v[143:144], v[175:176], v[143:144]
	v_add_f64 v[149:150], v[187:188], v[197:198]
	v_add_f64 v[135:136], v[179:180], v[135:136]
	v_add_f64 v[151:152], v[177:178], v[163:164]
	v_add_f64 v[153:154], v[173:174], v[183:184]
	v_add_f64 v[141:142], v[189:190], v[141:142]
	v_mul_f64 v[173:174], v[123:124], s[40:41]
	v_mul_f64 v[163:164], v[123:124], s[0:1]
	;; [unrolled: 1-line block ×5, first 2 shown]
	v_fma_f64 v[179:180], v[115:116], s[34:35], v[199:200]
	v_fma_f64 v[183:184], v[115:116], s[42:43], v[201:202]
	v_fma_f64 v[185:186], v[115:116], s[24:25], -v[203:204]
	v_fma_f64 v[187:188], v[115:116], s[24:25], v[203:204]
	v_fma_f64 v[189:190], v[115:116], s[36:37], -v[133:134]
	v_add_f64 v[60:61], v[117:118], v[60:61]
	v_add_f64 v[36:37], v[36:37], v[40:41]
	;; [unrolled: 1-line block ×4, first 2 shown]
	v_mul_f64 v[48:49], v[74:75], s[14:15]
	v_mul_f64 v[76:77], v[74:75], s[12:13]
	v_add_f64 v[64:65], v[64:65], -v[121:122]
	v_add_f64 v[72:73], v[207:208], v[72:73]
	v_add_f64 v[68:69], v[131:132], v[68:69]
	v_mul_f64 v[56:57], v[74:75], s[6:7]
	v_add_f64 v[52:53], v[52:53], -v[119:120]
	v_fma_f64 v[119:120], v[115:116], s[50:51], -v[191:192]
	v_fma_f64 v[121:122], v[115:116], s[50:51], v[191:192]
	v_fma_f64 v[115:116], v[115:116], s[36:37], v[133:134]
	v_add_f64 v[127:128], v[165:166], v[137:138]
	v_add_f64 v[131:132], v[145:146], v[139:140]
	;; [unrolled: 1-line block ×8, first 2 shown]
	v_mul_f64 v[143:144], v[54:55], s[14:15]
	v_mul_f64 v[145:146], v[113:114], s[28:29]
	;; [unrolled: 1-line block ×6, first 2 shown]
	v_fma_f64 v[153:154], v[74:75], s[26:27], v[173:174]
	v_fma_f64 v[155:156], v[74:75], s[30:31], -v[175:176]
	v_fma_f64 v[165:166], v[74:75], s[24:25], -v[177:178]
	v_fma_f64 v[167:168], v[74:75], s[24:25], v[177:178]
	v_fma_f64 v[169:170], v[74:75], s[50:51], -v[123:124]
	v_add_f64 v[32:33], v[32:33], v[36:37]
	v_add_f64 v[36:37], v[129:130], v[40:41]
	;; [unrolled: 1-line block ×3, first 2 shown]
	v_mul_f64 v[44:45], v[54:55], s[20:21]
	v_mul_f64 v[129:130], v[54:55], s[8:9]
	v_add_f64 v[48:49], v[48:49], -v[107:108]
	v_add_f64 v[76:77], v[76:77], -v[111:112]
	v_fma_f64 v[111:112], v[74:75], s[26:27], -v[173:174]
	v_add_f64 v[64:65], v[64:65], v[68:69]
	v_add_f64 v[68:69], v[181:182], v[72:73]
	v_add_f64 v[56:57], v[56:57], -v[109:110]
	v_fma_f64 v[107:108], v[74:75], s[22:23], -v[163:164]
	v_fma_f64 v[109:110], v[74:75], s[22:23], v[163:164]
	v_fma_f64 v[163:164], v[74:75], s[30:31], v[175:176]
	;; [unrolled: 1-line block ×3, first 2 shown]
	v_add_f64 v[72:73], v[171:172], v[127:128]
	v_add_f64 v[117:118], v[179:180], v[131:132]
	;; [unrolled: 1-line block ×8, first 2 shown]
	v_mul_f64 v[135:136], v[70:71], s[38:39]
	v_mul_f64 v[133:134], v[70:71], s[46:47]
	;; [unrolled: 1-line block ×4, first 2 shown]
	v_fma_f64 v[171:172], v[54:55], s[50:51], -v[113:114]
	v_mul_f64 v[70:71], v[70:71], s[54:55]
	v_fma_f64 v[141:142], v[54:55], s[36:37], -v[147:148]
	v_add_f64 v[28:29], v[28:29], v[32:33]
	v_add_f64 v[32:33], v[52:53], v[36:37]
	;; [unrolled: 1-line block ×3, first 2 shown]
	v_mul_f64 v[40:41], v[22:23], s[12:13]
	v_mul_f64 v[52:53], v[22:23], s[16:17]
	;; [unrolled: 1-line block ×3, first 2 shown]
	v_add_f64 v[44:45], v[44:45], -v[58:59]
	v_add_f64 v[58:59], v[129:130], -v[62:63]
	;; [unrolled: 1-line block ×3, first 2 shown]
	v_add_f64 v[48:49], v[48:49], v[60:61]
	v_add_f64 v[60:61], v[76:77], v[64:65]
	;; [unrolled: 1-line block ×3, first 2 shown]
	v_fma_f64 v[66:67], v[54:55], s[24:25], -v[145:146]
	v_fma_f64 v[129:130], v[54:55], s[24:25], v[145:146]
	v_fma_f64 v[145:146], v[54:55], s[26:27], -v[149:150]
	v_add_f64 v[68:69], v[169:170], v[72:73]
	v_add_f64 v[72:73], v[74:75], v[117:118]
	;; [unrolled: 1-line block ×3, first 2 shown]
	v_fma_f64 v[143:144], v[54:55], s[36:37], v[147:148]
	v_fma_f64 v[147:148], v[54:55], s[26:27], v[149:150]
	v_fma_f64 v[149:150], v[54:55], s[42:43], -v[151:152]
	v_fma_f64 v[151:152], v[54:55], s[42:43], v[151:152]
	v_add_f64 v[76:77], v[165:166], v[127:128]
	v_add_f64 v[111:112], v[167:168], v[115:116]
	v_fma_f64 v[54:55], v[54:55], s[50:51], v[113:114]
	v_add_f64 v[113:114], v[163:164], v[131:132]
	v_add_f64 v[115:116], v[153:154], v[125:126]
	v_add_f64 v[107:108], v[107:108], v[119:120]
	v_mul_f64 v[119:120], v[50:51], s[28:29]
	v_mul_f64 v[123:124], v[50:51], s[44:45]
	;; [unrolled: 1-line block ×3, first 2 shown]
	v_fma_f64 v[127:128], v[22:23], s[30:31], v[135:136]
	v_fma_f64 v[131:132], v[22:23], s[26:27], -v[137:138]
	v_mul_f64 v[117:118], v[50:51], s[40:41]
	v_mul_f64 v[50:51], v[50:51], s[48:49]
	v_add_f64 v[24:25], v[24:25], v[28:29]
	v_add_f64 v[28:29], v[56:57], v[32:33]
	;; [unrolled: 1-line block ×3, first 2 shown]
	v_mul_f64 v[56:57], v[18:19], s[14:15]
	v_mul_f64 v[109:110], v[18:19], s[6:7]
	v_add_f64 v[38:39], v[40:41], -v[38:39]
	v_add_f64 v[40:41], v[52:53], -v[42:43]
	v_add_f64 v[42:43], v[121:122], -v[46:47]
	v_fma_f64 v[121:122], v[22:23], s[30:31], -v[135:136]
	v_add_f64 v[44:45], v[44:45], v[48:49]
	v_add_f64 v[48:49], v[62:63], v[60:61]
	;; [unrolled: 1-line block ×3, first 2 shown]
	v_mul_f64 v[36:37], v[18:19], s[8:9]
	v_fma_f64 v[46:47], v[22:23], s[34:35], -v[133:134]
	v_fma_f64 v[52:53], v[22:23], s[34:35], v[133:134]
	v_fma_f64 v[133:134], v[22:23], s[26:27], v[137:138]
	v_fma_f64 v[135:136], v[22:23], s[22:23], -v[139:140]
	v_fma_f64 v[137:138], v[22:23], s[22:23], v[139:140]
	v_fma_f64 v[139:140], v[22:23], s[36:37], -v[70:71]
	v_add_f64 v[62:63], v[141:142], v[68:69]
	v_add_f64 v[68:69], v[145:146], v[74:75]
	v_fma_f64 v[22:23], v[22:23], s[36:37], v[70:71]
	v_add_f64 v[64:65], v[143:144], v[72:73]
	v_add_f64 v[70:71], v[149:150], v[76:77]
	;; [unrolled: 1-line block ×6, first 2 shown]
	v_fma_f64 v[76:77], v[18:19], s[42:43], -v[123:124]
	v_fma_f64 v[107:108], v[18:19], s[42:43], v[123:124]
	v_fma_f64 v[111:112], v[18:19], s[22:23], v[125:126]
	v_fma_f64 v[113:114], v[18:19], s[50:51], -v[50:51]
	v_add_f64 v[20:21], v[20:21], v[24:25]
	v_add_f64 v[24:25], v[58:59], v[28:29]
	;; [unrolled: 1-line block ×3, first 2 shown]
	v_add_f64 v[30:31], v[56:57], -v[30:31]
	v_add_f64 v[32:33], v[109:110], -v[34:35]
	v_fma_f64 v[56:57], v[18:19], s[24:25], -v[119:120]
	v_fma_f64 v[109:110], v[18:19], s[22:23], -v[125:126]
	;; [unrolled: 1-line block ×3, first 2 shown]
	v_fma_f64 v[58:59], v[18:19], s[24:25], v[119:120]
	v_add_f64 v[38:39], v[38:39], v[44:45]
	v_add_f64 v[42:43], v[42:43], v[48:49]
	v_add_f64 v[44:45], v[121:122], v[60:61]
	v_add_f64 v[26:27], v[36:37], -v[26:27]
	v_fma_f64 v[36:37], v[18:19], s[26:27], v[117:118]
	v_fma_f64 v[18:19], v[18:19], s[50:51], v[50:51]
	v_add_f64 v[48:49], v[131:132], v[62:63]
	v_add_f64 v[60:61], v[139:140], v[68:69]
	;; [unrolled: 1-line block ×25, first 2 shown]
	v_lshl_add_u32 v24, v106, 7, v157
	ds_store_2addr_b64 v24, v[28:29], v[32:33] offset0:4 offset1:5
	ds_store_2addr_b64 v24, v[38:39], v[42:43] offset0:6 offset1:7
	ds_store_2addr_b64 v24, v[44:45], v[18:19] offset0:8 offset1:9
	ds_store_2addr_b64 v24, v[22:23], v[40:41] offset0:10 offset1:11
	ds_store_2addr_b64 v24, v[48:49], v[14:15] offset0:12 offset1:13
	ds_store_2addr_b64 v24, v[8:9], v[10:11] offset0:14 offset1:15
	ds_store_2addr_b64 v24, v[12:13], v[34:35] offset1:1
	ds_store_2addr_b64 v24, v[26:27], v[16:17] offset0:2 offset1:3
	ds_store_b64 v24, v[20:21] offset:128
.LBB0_15:
	s_or_b32 exec_lo, exec_lo, s33
	v_and_b32_e32 v12, 0xff, v106
	s_load_b64 s[2:3], s[2:3], 0x0
	s_waitcnt lgkmcnt(0)
	s_barrier
	buffer_gl0_inv
	v_mul_lo_u16 v12, 0xf1, v12
	s_mov_b32 s8, 0x42a4c3d2
	s_mov_b32 s12, 0x66966769
	;; [unrolled: 1-line block ×4, first 2 shown]
	v_lshrrev_b16 v28, 12, v12
	s_mov_b32 s13, 0xbfefc445
	s_mov_b32 s18, 0x2ef20147
	;; [unrolled: 1-line block ×4, first 2 shown]
	v_mul_lo_u16 v12, v28, 17
	s_mov_b32 s19, 0xbfedeba7
	s_mov_b32 s21, 0xbfe5384d
	;; [unrolled: 1-line block ×4, first 2 shown]
	v_sub_nc_u16 v12, v106, v12
	s_mov_b32 s16, 0x1ea71119
	s_mov_b32 s24, 0xebaa3ed8
	;; [unrolled: 1-line block ×4, first 2 shown]
	v_and_b32_e32 v29, 0xff, v12
	s_mov_b32 s25, 0x3fbedb7d
	s_mov_b32 s28, 0xb2365da1
	;; [unrolled: 1-line block ×4, first 2 shown]
	v_mul_u32_u24_e32 v12, 12, v29
	s_mov_b32 s35, 0x3fefc445
	s_mov_b32 s37, 0x3fddbe06
	;; [unrolled: 1-line block ×4, first 2 shown]
	v_lshlrev_b32_e32 v12, 4, v12
	s_mov_b32 s36, s6
	s_mov_b32 s15, 0x3fec55a7
	;; [unrolled: 1-line block ×4, first 2 shown]
	s_clause 0xb
	global_load_b128 v[16:19], v12, s[4:5]
	global_load_b128 v[20:23], v12, s[4:5] offset:16
	global_load_b128 v[30:33], v12, s[4:5] offset:32
	;; [unrolled: 1-line block ×11, first 2 shown]
	ds_load_2addr_b64 v[24:27], v157 offset1:136
	ds_load_2addr_b64 v[127:130], v162 offset0:16 offset1:152
	ds_load_2addr_b64 v[131:134], v161 offset0:32 offset1:168
	s_mov_b32 s38, 0x93053d00
	s_mov_b32 s39, 0xbfef11f4
	;; [unrolled: 1-line block ×8, first 2 shown]
	v_and_b32_e32 v28, 0xffff, v28
	v_lshlrev_b32_e32 v29, 3, v29
	v_cmp_gt_u32_e64 s0, 0x55, v106
	s_delay_alu instid0(VALU_DEP_3)
	v_mul_u32_u24_e32 v28, 0x6e8, v28
	s_waitcnt vmcnt(11) lgkmcnt(2)
	v_mul_f64 v[12:13], v[26:27], v[18:19]
	s_waitcnt vmcnt(10) lgkmcnt(1)
	v_mul_f64 v[42:43], v[127:128], v[22:23]
	v_mul_f64 v[18:19], v[80:81], v[18:19]
	s_waitcnt vmcnt(8)
	v_mul_f64 v[44:45], v[4:5], v[36:37]
	s_waitcnt vmcnt(7) lgkmcnt(0)
	v_mul_f64 v[46:47], v[131:132], v[40:41]
	v_mul_f64 v[22:23], v[98:99], v[22:23]
	s_waitcnt vmcnt(6)
	v_mul_f64 v[48:49], v[92:93], v[66:67]
	v_mul_f64 v[54:55], v[100:101], v[32:33]
	s_waitcnt vmcnt(4)
	v_mul_f64 v[68:69], v[90:91], v[109:110]
	v_fma_f64 v[58:59], v[80:81], v[16:17], v[12:13]
	v_mul_f64 v[12:13], v[129:130], v[32:33]
	v_fma_f64 v[52:53], v[98:99], v[20:21], v[42:43]
	v_fma_f64 v[70:71], v[26:27], v[16:17], -v[18:19]
	ds_load_2addr_b64 v[16:19], v160 offset0:80 offset1:216
	v_mul_f64 v[26:27], v[133:134], v[76:77]
	v_fma_f64 v[46:47], v[94:95], v[38:39], v[46:47]
	v_fma_f64 v[62:63], v[127:128], v[20:21], -v[22:23]
	v_fma_f64 v[60:61], v[129:130], v[30:31], -v[54:55]
	s_waitcnt lgkmcnt(0)
	v_mul_f64 v[72:73], v[18:19], v[66:67]
	v_mul_f64 v[80:81], v[16:17], v[109:110]
	v_add_f64 v[42:43], v[78:79], v[58:59]
	v_fma_f64 v[56:57], v[100:101], v[30:31], v[12:13]
	s_delay_alu instid0(VALU_DEP_3) | instskip(NEXT) | instid1(VALU_DEP_3)
	v_fma_f64 v[80:81], v[90:91], v[107:108], v[80:81]
	v_add_f64 v[12:13], v[42:43], v[52:53]
	ds_load_b64 v[42:43], v157 offset:13056
	s_waitcnt lgkmcnt(0)
	v_mul_f64 v[36:37], v[42:43], v[36:37]
	v_fma_f64 v[50:51], v[42:43], v[34:35], -v[44:45]
	v_fma_f64 v[44:45], v[96:97], v[74:75], v[26:27]
	v_add_f64 v[42:43], v[12:13], v[56:57]
	v_fma_f64 v[12:13], v[18:19], v[64:65], -v[48:49]
	ds_load_2addr_b64 v[18:21], v159 offset0:48 offset1:184
	v_fma_f64 v[66:67], v[4:5], v[34:35], v[36:37]
	v_add_f64 v[4:5], v[70:71], -v[50:51]
	s_waitcnt vmcnt(3) lgkmcnt(0)
	v_mul_f64 v[22:23], v[18:19], v[113:114]
	v_mul_f64 v[36:37], v[94:95], v[40:41]
	s_waitcnt vmcnt(2)
	v_mul_f64 v[40:41], v[84:85], v[117:118]
	s_waitcnt vmcnt(1)
	v_mul_f64 v[30:31], v[20:21], v[121:122]
	ds_load_2addr_b64 v[32:35], v158 offset0:64 offset1:200
	v_mul_f64 v[113:114], v[86:87], v[113:114]
	s_waitcnt vmcnt(0) lgkmcnt(0)
	s_barrier
	buffer_gl0_inv
	v_add_f64 v[26:27], v[42:43], v[46:47]
	v_fma_f64 v[42:43], v[16:17], v[107:108], -v[68:69]
	v_fma_f64 v[68:69], v[92:93], v[64:65], v[72:73]
	v_add_f64 v[16:17], v[62:63], -v[12:13]
	v_mul_f64 v[117:118], v[34:35], v[117:118]
	v_add_f64 v[92:93], v[58:59], v[66:67]
	v_mul_f64 v[98:99], v[4:5], s[8:9]
	v_mul_f64 v[100:101], v[4:5], s[12:13]
	v_mul_f64 v[94:95], v[4:5], s[6:7]
	v_mul_f64 v[109:110], v[4:5], s[18:19]
	v_mul_f64 v[127:128], v[4:5], s[20:21]
	v_mul_f64 v[4:5], v[4:5], s[22:23]
	v_fma_f64 v[48:49], v[86:87], v[111:112], v[22:23]
	v_fma_f64 v[72:73], v[131:132], v[38:39], -v[36:37]
	v_fma_f64 v[54:55], v[34:35], v[115:116], -v[40:41]
	v_fma_f64 v[64:65], v[88:89], v[119:120], v[30:31]
	v_mul_f64 v[88:89], v[88:89], v[121:122]
	v_add_f64 v[22:23], v[26:27], v[44:45]
	v_mul_f64 v[26:27], v[96:97], v[76:77]
	v_mul_f64 v[76:77], v[32:33], v[125:126]
	;; [unrolled: 1-line block ×3, first 2 shown]
	v_add_f64 v[34:35], v[60:61], -v[42:43]
	v_add_f64 v[36:37], v[52:53], v[68:69]
	v_mul_f64 v[38:39], v[16:17], s[8:9]
	v_mul_f64 v[40:41], v[16:17], s[18:19]
	;; [unrolled: 1-line block ×6, first 2 shown]
	v_fma_f64 v[84:85], v[84:85], v[115:116], v[117:118]
	v_fma_f64 v[129:130], v[92:93], s[16:17], v[98:99]
	v_fma_f64 v[98:99], v[92:93], s[16:17], -v[98:99]
	v_fma_f64 v[131:132], v[92:93], s[24:25], v[100:101]
	v_fma_f64 v[30:31], v[92:93], s[14:15], v[94:95]
	;; [unrolled: 1-line block ×3, first 2 shown]
	v_fma_f64 v[109:110], v[92:93], s[28:29], -v[109:110]
	v_fma_f64 v[137:138], v[92:93], s[30:31], v[127:128]
	v_fma_f64 v[139:140], v[92:93], s[38:39], v[4:5]
	v_fma_f64 v[4:5], v[92:93], s[38:39], -v[4:5]
	v_fma_f64 v[127:128], v[92:93], s[30:31], -v[127:128]
	;; [unrolled: 1-line block ×4, first 2 shown]
	v_add_f64 v[22:23], v[22:23], v[48:49]
	v_fma_f64 v[86:87], v[133:134], v[74:75], -v[26:27]
	v_fma_f64 v[74:75], v[82:83], v[123:124], v[76:77]
	v_fma_f64 v[76:77], v[32:33], v[123:124], -v[96:97]
	v_add_f64 v[26:27], v[56:57], v[80:81]
	v_add_f64 v[32:33], v[72:73], -v[54:55]
	v_mul_f64 v[94:95], v[34:35], s[12:13]
	v_mul_f64 v[96:97], v[34:35], s[22:23]
	;; [unrolled: 1-line block ×6, first 2 shown]
	v_fma_f64 v[123:124], v[36:37], s[16:17], v[38:39]
	v_fma_f64 v[38:39], v[36:37], s[16:17], -v[38:39]
	v_fma_f64 v[133:134], v[36:37], s[28:29], v[40:41]
	v_fma_f64 v[40:41], v[36:37], s[28:29], -v[40:41]
	;; [unrolled: 2-line block ×6, first 2 shown]
	v_add_f64 v[36:37], v[78:79], v[129:130]
	v_add_f64 v[98:99], v[78:79], v[98:99]
	;; [unrolled: 1-line block ×12, first 2 shown]
	v_fma_f64 v[78:79], v[18:19], v[111:112], -v[113:114]
	v_fma_f64 v[82:83], v[20:21], v[119:120], -v[88:89]
	v_add_f64 v[22:23], v[22:23], v[64:65]
	v_add_f64 v[18:19], v[46:47], v[84:85]
	v_add_f64 v[20:21], v[86:87], -v[76:77]
	v_mul_f64 v[88:89], v[32:33], s[18:19]
	v_mul_f64 v[111:112], v[32:33], s[26:27]
	v_mul_f64 v[113:114], v[32:33], s[36:37]
	v_mul_f64 v[119:120], v[32:33], s[12:13]
	v_mul_f64 v[139:140], v[32:33], s[42:43]
	v_mul_f64 v[32:33], v[32:33], s[44:45]
	v_fma_f64 v[149:150], v[26:27], s[24:25], v[94:95]
	v_fma_f64 v[94:95], v[26:27], s[24:25], -v[94:95]
	v_fma_f64 v[151:152], v[26:27], s[38:39], v[96:97]
	v_fma_f64 v[96:97], v[26:27], s[38:39], -v[96:97]
	v_fma_f64 v[153:154], v[26:27], s[28:29], v[115:116]
	v_fma_f64 v[115:116], v[26:27], s[28:29], -v[115:116]
	v_fma_f64 v[155:156], v[26:27], s[14:15], v[117:118]
	v_fma_f64 v[117:118], v[26:27], s[14:15], -v[117:118]
	v_fma_f64 v[158:159], v[26:27], s[16:17], v[121:122]
	v_fma_f64 v[121:122], v[26:27], s[16:17], -v[121:122]
	v_fma_f64 v[160:161], v[26:27], s[30:31], v[34:35]
	v_fma_f64 v[26:27], v[26:27], s[30:31], -v[34:35]
	v_add_f64 v[34:35], v[133:134], v[36:37]
	v_add_f64 v[36:37], v[40:41], v[98:99]
	;; [unrolled: 1-line block ×13, first 2 shown]
	v_add_f64 v[100:101], v[78:79], -v[82:83]
	v_add_f64 v[22:23], v[22:23], v[74:75]
	v_mul_f64 v[127:128], v[20:21], s[34:35]
	v_mul_f64 v[129:130], v[20:21], s[8:9]
	v_fma_f64 v[135:136], v[18:19], s[28:29], v[88:89]
	v_fma_f64 v[88:89], v[18:19], s[28:29], -v[88:89]
	v_fma_f64 v[137:138], v[18:19], s[30:31], v[111:112]
	v_fma_f64 v[111:112], v[18:19], s[30:31], -v[111:112]
	;; [unrolled: 2-line block ×6, first 2 shown]
	v_mul_f64 v[125:126], v[20:21], s[20:21]
	v_mul_f64 v[131:132], v[20:21], s[42:43]
	;; [unrolled: 1-line block ×4, first 2 shown]
	v_add_f64 v[32:33], v[151:152], v[34:35]
	v_add_f64 v[34:35], v[96:97], v[36:37]
	;; [unrolled: 1-line block ×13, first 2 shown]
	v_mul_f64 v[94:95], v[100:101], s[22:23]
	v_add_f64 v[22:23], v[22:23], v[84:85]
	v_mul_f64 v[109:110], v[100:101], s[36:37]
	v_mul_f64 v[115:116], v[100:101], s[20:21]
	v_fma_f64 v[149:150], v[92:93], s[24:25], v[127:128]
	v_fma_f64 v[127:128], v[92:93], s[24:25], -v[127:128]
	v_fma_f64 v[151:152], v[92:93], s[16:17], v[129:130]
	v_mul_f64 v[117:118], v[100:101], s[44:45]
	v_mul_f64 v[121:122], v[100:101], s[18:19]
	v_fma_f64 v[129:130], v[92:93], s[16:17], -v[129:130]
	v_mul_f64 v[100:101], v[100:101], s[34:35]
	v_fma_f64 v[123:124], v[92:93], s[30:31], v[125:126]
	v_fma_f64 v[125:126], v[92:93], s[30:31], -v[125:126]
	v_fma_f64 v[153:154], v[92:93], s[38:39], v[131:132]
	v_fma_f64 v[131:132], v[92:93], s[38:39], -v[131:132]
	;; [unrolled: 2-line block ×3, first 2 shown]
	v_fma_f64 v[158:159], v[92:93], s[28:29], v[20:21]
	v_add_f64 v[32:33], v[137:138], v[32:33]
	v_add_f64 v[34:35], v[111:112], v[34:35]
	;; [unrolled: 1-line block ×3, first 2 shown]
	v_fma_f64 v[20:21], v[92:93], s[28:29], -v[20:21]
	v_add_f64 v[30:31], v[135:136], v[30:31]
	v_add_f64 v[40:41], v[143:144], v[40:41]
	;; [unrolled: 1-line block ×9, first 2 shown]
	v_fma_f64 v[38:39], v[90:91], s[38:39], v[94:95]
	v_add_f64 v[22:23], v[22:23], v[80:81]
	v_fma_f64 v[88:89], v[90:91], s[38:39], -v[94:95]
	v_fma_f64 v[94:95], v[90:91], s[14:15], v[109:110]
	v_fma_f64 v[107:108], v[90:91], s[14:15], -v[109:110]
	v_fma_f64 v[109:110], v[90:91], s[30:31], v[115:116]
	;; [unrolled: 2-line block ×5, first 2 shown]
	v_fma_f64 v[90:91], v[90:91], s[24:25], -v[100:101]
	v_add_f64 v[32:33], v[149:150], v[32:33]
	v_add_f64 v[34:35], v[127:128], v[34:35]
	;; [unrolled: 1-line block ×25, first 2 shown]
	v_add3_u32 v91, 0, v28, v29
	v_add_f64 v[26:27], v[100:101], v[66:67]
	v_add_nc_u32_e32 v88, 0xd00, v157
	v_add_nc_u32_e32 v89, 0x1b00, v157
	;; [unrolled: 1-line block ×3, first 2 shown]
	ds_store_2addr_b64 v91, v[32:33], v[34:35] offset0:34 offset1:51
	ds_store_2addr_b64 v91, v[36:37], v[38:39] offset0:68 offset1:85
	;; [unrolled: 1-line block ×5, first 2 shown]
	ds_store_b64 v91, v[4:5] offset:1632
	ds_store_2addr_b64 v91, v[26:27], v[30:31] offset1:17
	s_waitcnt lgkmcnt(0)
	s_barrier
	buffer_gl0_inv
	ds_load_2addr_b64 v[26:29], v157 offset1:221
	ds_load_2addr_b64 v[34:37], v88 offset0:26 offset1:247
	ds_load_2addr_b64 v[30:33], v89 offset0:20 offset1:241
	ds_load_2addr_b64 v[38:41], v90 offset0:14 offset1:235
	s_and_saveexec_b32 s1, s0
	s_cbranch_execz .LBB0_17
; %bb.16:
	v_add_nc_u32_e32 v0, 0x400, v157
	v_add_nc_u32_e32 v1, 0x1200, v157
	;; [unrolled: 1-line block ×4, first 2 shown]
	ds_load_2addr_b64 v[16:19], v0 offset0:8 offset1:229
	ds_load_2addr_b64 v[20:23], v1 offset0:2 offset1:223
	;; [unrolled: 1-line block ×4, first 2 shown]
.LBB0_17:
	s_or_b32 exec_lo, exec_lo, s1
	v_add_f64 v[92:93], v[24:25], v[70:71]
	v_add_f64 v[70:71], v[70:71], v[50:51]
	v_add_f64 v[58:59], v[58:59], -v[66:67]
	v_add_f64 v[52:53], v[52:53], -v[68:69]
	;; [unrolled: 1-line block ×6, first 2 shown]
	s_waitcnt lgkmcnt(0)
	s_barrier
	buffer_gl0_inv
	v_add_f64 v[92:93], v[92:93], v[62:63]
	v_add_f64 v[62:63], v[62:63], v[12:13]
	v_mul_f64 v[66:67], v[70:71], s[14:15]
	v_mul_f64 v[94:95], v[70:71], s[16:17]
	;; [unrolled: 1-line block ×6, first 2 shown]
	v_add_f64 v[92:93], v[92:93], v[60:61]
	v_add_f64 v[60:61], v[60:61], v[42:43]
	v_mul_f64 v[68:69], v[62:63], s[16:17]
	v_mul_f64 v[107:108], v[62:63], s[28:29]
	;; [unrolled: 1-line block ×6, first 2 shown]
	v_fma_f64 v[115:116], v[58:59], s[36:37], v[66:67]
	v_fma_f64 v[117:118], v[58:59], s[44:45], v[94:95]
	;; [unrolled: 1-line block ×12, first 2 shown]
	v_add_f64 v[92:93], v[92:93], v[72:73]
	v_add_f64 v[72:73], v[72:73], v[54:55]
	v_mul_f64 v[80:81], v[60:61], s[24:25]
	v_mul_f64 v[127:128], v[60:61], s[28:29]
	;; [unrolled: 1-line block ×4, first 2 shown]
	v_fma_f64 v[133:134], v[52:53], s[44:45], v[68:69]
	v_fma_f64 v[68:69], v[52:53], s[8:9], v[68:69]
	;; [unrolled: 1-line block ×12, first 2 shown]
	v_add_f64 v[62:63], v[24:25], v[115:116]
	v_add_f64 v[115:116], v[24:25], v[117:118]
	;; [unrolled: 1-line block ×13, first 2 shown]
	v_mul_f64 v[84:85], v[72:73], s[28:29]
	v_mul_f64 v[125:126], v[72:73], s[14:15]
	;; [unrolled: 1-line block ×4, first 2 shown]
	v_fma_f64 v[149:150], v[56:57], s[34:35], v[80:81]
	v_fma_f64 v[80:81], v[56:57], s[12:13], v[80:81]
	;; [unrolled: 1-line block ×8, first 2 shown]
	v_add_f64 v[94:95], v[107:108], v[94:95]
	v_add_f64 v[107:108], v[137:138], v[117:118]
	;; [unrolled: 1-line block ×11, first 2 shown]
	v_mul_f64 v[92:93], v[60:61], s[38:39]
	v_mul_f64 v[60:61], v[60:61], s[30:31]
	v_fma_f64 v[109:110], v[46:47], s[40:41], v[84:85]
	v_fma_f64 v[84:85], v[46:47], s[18:19], v[84:85]
	;; [unrolled: 1-line block ×4, first 2 shown]
	v_add_f64 v[98:99], v[129:130], v[98:99]
	v_add_f64 v[24:25], v[80:81], v[24:25]
	v_mul_f64 v[64:65], v[68:69], s[14:15]
	v_mul_f64 v[80:81], v[68:69], s[30:31]
	v_add_f64 v[58:59], v[66:67], v[82:83]
	v_add_f64 v[66:67], v[86:87], v[76:77]
	v_mul_f64 v[86:87], v[72:73], s[30:31]
	v_mul_f64 v[72:73], v[72:73], s[16:17]
	v_fma_f64 v[151:152], v[56:57], s[42:43], v[92:93]
	v_fma_f64 v[92:93], v[56:57], s[22:23], v[92:93]
	;; [unrolled: 1-line block ×4, first 2 shown]
	v_add_f64 v[60:61], v[133:134], v[62:63]
	v_add_f64 v[62:63], v[135:136], v[115:116]
	;; [unrolled: 1-line block ×3, first 2 shown]
	v_fma_f64 v[119:120], v[46:47], s[6:7], v[125:126]
	v_fma_f64 v[125:126], v[46:47], s[12:13], v[145:146]
	;; [unrolled: 1-line block ×4, first 2 shown]
	v_add_f64 v[24:25], v[84:85], v[24:25]
	v_fma_f64 v[84:85], v[48:49], s[26:27], v[80:81]
	v_fma_f64 v[80:81], v[48:49], s[20:21], v[80:81]
	v_add_f64 v[58:59], v[58:59], v[76:77]
	v_mul_f64 v[74:75], v[66:67], s[30:31]
	v_mul_f64 v[76:77], v[66:67], s[24:25]
	;; [unrolled: 1-line block ×6, first 2 shown]
	v_fma_f64 v[113:114], v[46:47], s[20:21], v[86:87]
	v_fma_f64 v[86:87], v[46:47], s[26:27], v[86:87]
	;; [unrolled: 1-line block ×4, first 2 shown]
	v_add_f64 v[60:61], v[149:150], v[60:61]
	v_add_f64 v[62:63], v[151:152], v[62:63]
	;; [unrolled: 1-line block ×10, first 2 shown]
	v_mul_f64 v[96:97], v[68:69], s[16:17]
	v_mul_f64 v[115:116], v[68:69], s[28:29]
	v_add_f64 v[54:55], v[58:59], v[54:55]
	v_mul_f64 v[58:59], v[68:69], s[38:39]
	v_mul_f64 v[68:69], v[68:69], s[24:25]
	v_fma_f64 v[117:118], v[44:45], s[26:27], v[74:75]
	v_fma_f64 v[74:75], v[44:45], s[20:21], v[74:75]
	;; [unrolled: 1-line block ×12, first 2 shown]
	v_add_f64 v[60:61], v[109:110], v[60:61]
	v_add_f64 v[62:63], v[113:114], v[62:63]
	;; [unrolled: 1-line block ×11, first 2 shown]
	v_fma_f64 v[70:71], v[48:49], s[6:7], v[64:65]
	v_fma_f64 v[64:65], v[48:49], s[36:37], v[64:65]
	;; [unrolled: 1-line block ×6, first 2 shown]
	v_add_f64 v[42:43], v[54:55], v[42:43]
	v_fma_f64 v[54:55], v[48:49], s[42:43], v[58:59]
	v_fma_f64 v[58:59], v[48:49], s[22:23], v[58:59]
	v_fma_f64 v[113:114], v[48:49], s[12:13], v[68:69]
	v_fma_f64 v[68:69], v[48:49], s[34:35], v[68:69]
	v_add_f64 v[24:25], v[74:75], v[24:25]
	v_add_f64 v[48:49], v[117:118], v[60:61]
	;; [unrolled: 1-line block ×26, first 2 shown]
	ds_store_2addr_b64 v91, v[60:61], v[62:63] offset0:34 offset1:51
	ds_store_2addr_b64 v91, v[64:65], v[66:67] offset0:68 offset1:85
	;; [unrolled: 1-line block ×5, first 2 shown]
	ds_store_b64 v91, v[12:13] offset:1632
	ds_store_2addr_b64 v91, v[24:25], v[54:55] offset1:17
	s_waitcnt lgkmcnt(0)
	s_barrier
	buffer_gl0_inv
	ds_load_2addr_b64 v[50:53], v157 offset1:221
	ds_load_2addr_b64 v[54:57], v88 offset0:26 offset1:247
	ds_load_2addr_b64 v[62:65], v89 offset0:20 offset1:241
	;; [unrolled: 1-line block ×3, first 2 shown]
	s_and_saveexec_b32 s1, s0
	s_cbranch_execz .LBB0_19
; %bb.18:
	v_add_nc_u32_e32 v8, 0x400, v157
	v_add_nc_u32_e32 v9, 0x1200, v157
	;; [unrolled: 1-line block ×4, first 2 shown]
	ds_load_2addr_b64 v[42:45], v8 offset0:8 offset1:229
	ds_load_2addr_b64 v[46:49], v9 offset0:2 offset1:223
	;; [unrolled: 1-line block ×4, first 2 shown]
.LBB0_19:
	s_or_b32 exec_lo, exec_lo, s1
	s_and_saveexec_b32 s1, vcc_lo
	s_cbranch_execz .LBB0_22
; %bb.20:
	v_mul_u32_u24_e32 v24, 7, v106
	s_mov_b32 s6, 0x667f3bcd
	s_mov_b32 s7, 0x3fe6a09e
	;; [unrolled: 1-line block ×4, first 2 shown]
	v_lshlrev_b32_e32 v24, 4, v24
	s_clause 0x6
	global_load_b128 v[66:69], v24, s[4:5] offset:3312
	global_load_b128 v[70:73], v24, s[4:5] offset:3280
	global_load_b128 v[74:77], v24, s[4:5] offset:3344
	global_load_b128 v[78:81], v24, s[4:5] offset:3264
	global_load_b128 v[82:85], v24, s[4:5] offset:3328
	global_load_b128 v[86:89], v24, s[4:5] offset:3296
	global_load_b128 v[90:93], v24, s[4:5] offset:3360
	s_waitcnt vmcnt(6)
	v_mul_f64 v[24:25], v[30:31], v[68:69]
	s_waitcnt vmcnt(5)
	v_mul_f64 v[94:95], v[34:35], v[70:71]
	;; [unrolled: 2-line block ×7, first 2 shown]
	s_waitcnt lgkmcnt(3)
	v_mul_f64 v[80:81], v[52:53], v[80:81]
	s_waitcnt lgkmcnt(1)
	v_mul_f64 v[84:85], v[64:65], v[84:85]
	v_mul_f64 v[36:37], v[36:37], v[88:89]
	;; [unrolled: 1-line block ×6, first 2 shown]
	v_fma_f64 v[24:25], v[62:63], v[66:67], -v[24:25]
	v_fma_f64 v[62:63], v[54:55], v[72:73], v[94:95]
	s_waitcnt lgkmcnt(0)
	v_fma_f64 v[72:73], v[58:59], v[76:77], v[96:97]
	v_fma_f64 v[52:53], v[52:53], v[78:79], -v[98:99]
	v_fma_f64 v[64:65], v[64:65], v[82:83], -v[100:101]
	v_fma_f64 v[76:77], v[56:57], v[88:89], v[107:108]
	v_mov_b32_e32 v107, 0
	v_fma_f64 v[88:89], v[60:61], v[92:93], v[109:110]
	v_fma_f64 v[28:29], v[28:29], v[78:79], v[80:81]
	;; [unrolled: 1-line block ×3, first 2 shown]
	v_fma_f64 v[36:37], v[56:57], v[86:87], -v[36:37]
	v_fma_f64 v[40:41], v[60:61], v[90:91], -v[40:41]
	;; [unrolled: 1-line block ×4, first 2 shown]
	v_fma_f64 v[30:31], v[30:31], v[66:67], v[68:69]
	v_add_f64 v[24:25], v[50:51], -v[24:25]
	v_add_f64 v[54:55], v[62:63], -v[72:73]
	;; [unrolled: 1-line block ×8, first 2 shown]
	v_fma_f64 v[50:51], v[50:51], 2.0, -v[24:25]
	v_add_f64 v[64:65], v[24:25], -v[54:55]
	v_add_f64 v[60:61], v[56:57], -v[58:59]
	v_fma_f64 v[28:29], v[28:29], 2.0, -v[32:33]
	v_add_f64 v[66:67], v[32:33], v[40:41]
	v_fma_f64 v[36:37], v[36:37], 2.0, -v[40:41]
	v_fma_f64 v[34:35], v[34:35], 2.0, -v[38:39]
	v_add_f64 v[68:69], v[30:31], v[38:39]
	v_fma_f64 v[26:27], v[26:27], 2.0, -v[30:31]
	v_fma_f64 v[38:39], v[52:53], 2.0, -v[56:57]
	;; [unrolled: 1-line block ×7, first 2 shown]
	v_add_f64 v[34:35], v[50:51], -v[34:35]
	v_fma_f64 v[30:31], v[30:31], 2.0, -v[68:69]
	v_fma_f64 v[56:57], v[66:67], s[6:7], v[68:69]
	v_add_f64 v[36:37], v[38:39], -v[36:37]
	v_add_f64 v[70:71], v[26:27], -v[40:41]
	;; [unrolled: 1-line block ×3, first 2 shown]
	v_fma_f64 v[40:41], v[60:61], s[6:7], v[64:65]
	v_fma_f64 v[58:59], v[54:55], s[8:9], v[24:25]
	v_fma_f64 v[74:75], v[50:51], 2.0, -v[34:35]
	v_fma_f64 v[62:63], v[32:33], s[8:9], v[30:31]
	v_fma_f64 v[72:73], v[38:39], 2.0, -v[36:37]
	v_fma_f64 v[26:27], v[26:27], 2.0, -v[70:71]
	;; [unrolled: 1-line block ×3, first 2 shown]
	v_fma_f64 v[38:39], v[60:61], s[6:7], v[56:57]
	v_add_f64 v[52:53], v[34:35], -v[52:53]
	v_add_f64 v[50:51], v[70:71], v[36:37]
	v_fma_f64 v[40:41], v[66:67], s[8:9], v[40:41]
	v_lshlrev_b64 v[36:37], 4, v[106:107]
	v_fma_f64 v[56:57], v[32:33], s[8:9], v[58:59]
	v_mul_lo_u32 v32, s3, v104
	v_mul_lo_u32 v33, s2, v105
	v_fma_f64 v[54:55], v[54:55], s[6:7], v[62:63]
	v_add_f64 v[60:61], v[74:75], -v[72:73]
	v_add_f64 v[58:59], v[26:27], -v[28:29]
	v_mad_u64_u32 v[28:29], null, s2, v104, 0
	v_fma_f64 v[62:63], v[68:69], 2.0, -v[38:39]
	v_fma_f64 v[68:69], v[34:35], 2.0, -v[52:53]
	v_fma_f64 v[66:67], v[70:71], 2.0, -v[50:51]
	v_fma_f64 v[64:65], v[64:65], 2.0, -v[40:41]
	v_add3_u32 v29, v29, v33, v32
	v_lshlrev_b64 v[32:33], 4, v[102:103]
	s_delay_alu instid0(VALU_DEP_2) | instskip(NEXT) | instid1(VALU_DEP_1)
	v_lshlrev_b64 v[28:29], 4, v[28:29]
	v_add_co_u32 v28, vcc_lo, s10, v28
	s_delay_alu instid0(VALU_DEP_2) | instskip(SKIP_1) | instid1(VALU_DEP_3)
	v_add_co_ci_u32_e32 v29, vcc_lo, s11, v29, vcc_lo
	v_fma_f64 v[72:73], v[24:25], 2.0, -v[56:57]
	v_add_co_u32 v24, vcc_lo, v28, v32
	s_delay_alu instid0(VALU_DEP_3) | instskip(NEXT) | instid1(VALU_DEP_2)
	v_add_co_ci_u32_e32 v25, vcc_lo, v29, v33, vcc_lo
	v_add_co_u32 v24, vcc_lo, v24, v36
	v_fma_f64 v[70:71], v[30:31], 2.0, -v[54:55]
	v_fma_f64 v[76:77], v[74:75], 2.0, -v[60:61]
	s_delay_alu instid0(VALU_DEP_4) | instskip(SKIP_2) | instid1(VALU_DEP_3)
	v_add_co_ci_u32_e32 v25, vcc_lo, v25, v37, vcc_lo
	v_fma_f64 v[74:75], v[26:27], 2.0, -v[58:59]
	v_add_co_u32 v26, vcc_lo, 0x1000, v24
	v_add_co_ci_u32_e32 v27, vcc_lo, 0, v25, vcc_lo
	v_add_co_u32 v30, vcc_lo, 0x2000, v24
	v_add_co_ci_u32_e32 v31, vcc_lo, 0, v25, vcc_lo
	;; [unrolled: 2-line block ×6, first 2 shown]
	s_clause 0x7
	global_store_b128 v[26:27], v[66:69], off offset:2976
	global_store_b128 v[30:31], v[62:65], off offset:2416
	global_store_b128 v[28:29], v[58:61], off offset:1856
	global_store_b128 v[32:33], v[54:57], off offset:1296
	global_store_b128 v[24:25], v[74:77], off
	global_store_b128 v[24:25], v[70:73], off offset:3536
	global_store_b128 v[34:35], v[50:53], off offset:736
	;; [unrolled: 1-line block ×3, first 2 shown]
	s_and_b32 exec_lo, exec_lo, s0
	s_cbranch_execz .LBB0_22
; %bb.21:
	v_mov_b32_e32 v38, 0x88
	s_delay_alu instid0(VALU_DEP_1) | instskip(NEXT) | instid1(VALU_DEP_1)
	v_cndmask_b32_e64 v38, 0xffffffab, v38, s0
	v_add_nc_u32_e32 v38, v106, v38
	s_delay_alu instid0(VALU_DEP_1) | instskip(NEXT) | instid1(VALU_DEP_1)
	v_mul_i32_i24_e32 v106, 7, v38
	v_lshlrev_b64 v[38:39], 4, v[106:107]
	s_delay_alu instid0(VALU_DEP_1) | instskip(NEXT) | instid1(VALU_DEP_2)
	v_add_co_u32 v70, vcc_lo, s4, v38
	v_add_co_ci_u32_e32 v71, vcc_lo, s5, v39, vcc_lo
	s_clause 0x6
	global_load_b128 v[38:41], v[70:71], off offset:3264
	global_load_b128 v[50:53], v[70:71], off offset:3280
	;; [unrolled: 1-line block ×7, first 2 shown]
	s_waitcnt vmcnt(6)
	v_mul_f64 v[74:75], v[44:45], v[40:41]
	v_mul_f64 v[40:41], v[18:19], v[40:41]
	s_waitcnt vmcnt(5)
	v_mul_f64 v[76:77], v[46:47], v[52:53]
	v_mul_f64 v[52:53], v[20:21], v[52:53]
	;; [unrolled: 3-line block ×7, first 2 shown]
	v_fma_f64 v[18:19], v[18:19], v[38:39], v[74:75]
	v_fma_f64 v[38:39], v[44:45], v[38:39], -v[40:41]
	v_fma_f64 v[20:21], v[20:21], v[50:51], v[76:77]
	v_fma_f64 v[40:41], v[46:47], v[50:51], -v[52:53]
	;; [unrolled: 2-line block ×7, first 2 shown]
	v_add_f64 v[4:5], v[16:17], -v[4:5]
	v_add_f64 v[12:13], v[42:43], -v[12:13]
	;; [unrolled: 1-line block ×8, first 2 shown]
	v_fma_f64 v[16:17], v[16:17], 2.0, -v[4:5]
	v_fma_f64 v[42:43], v[42:43], 2.0, -v[12:13]
	;; [unrolled: 1-line block ×6, first 2 shown]
	v_add_f64 v[46:47], v[4:5], v[8:9]
	v_add_f64 v[48:49], v[12:13], -v[0:1]
	v_fma_f64 v[0:1], v[22:23], 2.0, -v[2:3]
	v_fma_f64 v[8:9], v[44:45], 2.0, -v[10:11]
	v_add_f64 v[10:11], v[6:7], v[10:11]
	v_add_f64 v[22:23], v[14:15], -v[2:3]
	v_add_f64 v[20:21], v[16:17], -v[20:21]
	;; [unrolled: 1-line block ×3, first 2 shown]
	v_fma_f64 v[44:45], v[4:5], 2.0, -v[46:47]
	v_fma_f64 v[50:51], v[12:13], 2.0, -v[48:49]
	v_add_f64 v[2:3], v[18:19], -v[0:1]
	v_add_f64 v[0:1], v[38:39], -v[8:9]
	v_fma_f64 v[52:53], v[6:7], 2.0, -v[10:11]
	v_fma_f64 v[12:13], v[14:15], 2.0, -v[22:23]
	v_fma_f64 v[4:5], v[10:11], s[6:7], v[46:47]
	v_fma_f64 v[6:7], v[22:23], s[6:7], v[48:49]
	v_fma_f64 v[54:55], v[16:17], 2.0, -v[20:21]
	v_fma_f64 v[42:43], v[42:43], 2.0, -v[40:41]
	;; [unrolled: 1-line block ×4, first 2 shown]
	v_fma_f64 v[16:17], v[52:53], s[8:9], v[44:45]
	v_fma_f64 v[18:19], v[12:13], s[8:9], v[50:51]
	v_add_f64 v[0:1], v[20:21], v[0:1]
	v_add_f64 v[2:3], v[40:41], -v[2:3]
	v_fma_f64 v[4:5], v[22:23], s[6:7], v[4:5]
	v_fma_f64 v[6:7], v[10:11], s[8:9], v[6:7]
	v_add_f64 v[8:9], v[54:55], -v[8:9]
	v_add_f64 v[10:11], v[42:43], -v[14:15]
	v_fma_f64 v[12:13], v[12:13], s[6:7], v[16:17]
	v_fma_f64 v[14:15], v[52:53], s[8:9], v[18:19]
	v_fma_f64 v[16:17], v[20:21], 2.0, -v[0:1]
	v_fma_f64 v[18:19], v[40:41], 2.0, -v[2:3]
	;; [unrolled: 1-line block ×8, first 2 shown]
	s_clause 0x7
	global_store_b128 v[30:31], v[16:19], off offset:1056
	global_store_b128 v[28:29], v[20:23], off offset:496
	;; [unrolled: 1-line block ×8, first 2 shown]
.LBB0_22:
	s_nop 0
	s_sendmsg sendmsg(MSG_DEALLOC_VGPRS)
	s_endpgm
	.section	.rodata,"a",@progbits
	.p2align	6, 0x0
	.amdhsa_kernel fft_rtc_back_len1768_factors_17_13_8_wgs_136_tpt_136_halfLds_dp_op_CI_CI_unitstride_sbrr_dirReg
		.amdhsa_group_segment_fixed_size 0
		.amdhsa_private_segment_fixed_size 0
		.amdhsa_kernarg_size 104
		.amdhsa_user_sgpr_count 15
		.amdhsa_user_sgpr_dispatch_ptr 0
		.amdhsa_user_sgpr_queue_ptr 0
		.amdhsa_user_sgpr_kernarg_segment_ptr 1
		.amdhsa_user_sgpr_dispatch_id 0
		.amdhsa_user_sgpr_private_segment_size 0
		.amdhsa_wavefront_size32 1
		.amdhsa_uses_dynamic_stack 0
		.amdhsa_enable_private_segment 0
		.amdhsa_system_sgpr_workgroup_id_x 1
		.amdhsa_system_sgpr_workgroup_id_y 0
		.amdhsa_system_sgpr_workgroup_id_z 0
		.amdhsa_system_sgpr_workgroup_info 0
		.amdhsa_system_vgpr_workitem_id 0
		.amdhsa_next_free_vgpr 211
		.amdhsa_next_free_sgpr 60
		.amdhsa_reserve_vcc 1
		.amdhsa_float_round_mode_32 0
		.amdhsa_float_round_mode_16_64 0
		.amdhsa_float_denorm_mode_32 3
		.amdhsa_float_denorm_mode_16_64 3
		.amdhsa_dx10_clamp 1
		.amdhsa_ieee_mode 1
		.amdhsa_fp16_overflow 0
		.amdhsa_workgroup_processor_mode 1
		.amdhsa_memory_ordered 1
		.amdhsa_forward_progress 0
		.amdhsa_shared_vgpr_count 0
		.amdhsa_exception_fp_ieee_invalid_op 0
		.amdhsa_exception_fp_denorm_src 0
		.amdhsa_exception_fp_ieee_div_zero 0
		.amdhsa_exception_fp_ieee_overflow 0
		.amdhsa_exception_fp_ieee_underflow 0
		.amdhsa_exception_fp_ieee_inexact 0
		.amdhsa_exception_int_div_zero 0
	.end_amdhsa_kernel
	.text
.Lfunc_end0:
	.size	fft_rtc_back_len1768_factors_17_13_8_wgs_136_tpt_136_halfLds_dp_op_CI_CI_unitstride_sbrr_dirReg, .Lfunc_end0-fft_rtc_back_len1768_factors_17_13_8_wgs_136_tpt_136_halfLds_dp_op_CI_CI_unitstride_sbrr_dirReg
                                        ; -- End function
	.section	.AMDGPU.csdata,"",@progbits
; Kernel info:
; codeLenInByte = 15488
; NumSgprs: 62
; NumVgprs: 211
; ScratchSize: 0
; MemoryBound: 1
; FloatMode: 240
; IeeeMode: 1
; LDSByteSize: 0 bytes/workgroup (compile time only)
; SGPRBlocks: 7
; VGPRBlocks: 26
; NumSGPRsForWavesPerEU: 62
; NumVGPRsForWavesPerEU: 211
; Occupancy: 7
; WaveLimiterHint : 1
; COMPUTE_PGM_RSRC2:SCRATCH_EN: 0
; COMPUTE_PGM_RSRC2:USER_SGPR: 15
; COMPUTE_PGM_RSRC2:TRAP_HANDLER: 0
; COMPUTE_PGM_RSRC2:TGID_X_EN: 1
; COMPUTE_PGM_RSRC2:TGID_Y_EN: 0
; COMPUTE_PGM_RSRC2:TGID_Z_EN: 0
; COMPUTE_PGM_RSRC2:TIDIG_COMP_CNT: 0
	.text
	.p2alignl 7, 3214868480
	.fill 96, 4, 3214868480
	.type	__hip_cuid_4f11be3e51fe7eb7,@object ; @__hip_cuid_4f11be3e51fe7eb7
	.section	.bss,"aw",@nobits
	.globl	__hip_cuid_4f11be3e51fe7eb7
__hip_cuid_4f11be3e51fe7eb7:
	.byte	0                               ; 0x0
	.size	__hip_cuid_4f11be3e51fe7eb7, 1

	.ident	"AMD clang version 19.0.0git (https://github.com/RadeonOpenCompute/llvm-project roc-6.4.0 25133 c7fe45cf4b819c5991fe208aaa96edf142730f1d)"
	.section	".note.GNU-stack","",@progbits
	.addrsig
	.addrsig_sym __hip_cuid_4f11be3e51fe7eb7
	.amdgpu_metadata
---
amdhsa.kernels:
  - .args:
      - .actual_access:  read_only
        .address_space:  global
        .offset:         0
        .size:           8
        .value_kind:     global_buffer
      - .offset:         8
        .size:           8
        .value_kind:     by_value
      - .actual_access:  read_only
        .address_space:  global
        .offset:         16
        .size:           8
        .value_kind:     global_buffer
      - .actual_access:  read_only
        .address_space:  global
        .offset:         24
        .size:           8
        .value_kind:     global_buffer
      - .actual_access:  read_only
        .address_space:  global
        .offset:         32
        .size:           8
        .value_kind:     global_buffer
      - .offset:         40
        .size:           8
        .value_kind:     by_value
      - .actual_access:  read_only
        .address_space:  global
        .offset:         48
        .size:           8
        .value_kind:     global_buffer
      - .actual_access:  read_only
        .address_space:  global
        .offset:         56
        .size:           8
        .value_kind:     global_buffer
      - .offset:         64
        .size:           4
        .value_kind:     by_value
      - .actual_access:  read_only
        .address_space:  global
        .offset:         72
        .size:           8
        .value_kind:     global_buffer
      - .actual_access:  read_only
        .address_space:  global
        .offset:         80
        .size:           8
        .value_kind:     global_buffer
      - .actual_access:  read_only
        .address_space:  global
        .offset:         88
        .size:           8
        .value_kind:     global_buffer
      - .actual_access:  write_only
        .address_space:  global
        .offset:         96
        .size:           8
        .value_kind:     global_buffer
    .group_segment_fixed_size: 0
    .kernarg_segment_align: 8
    .kernarg_segment_size: 104
    .language:       OpenCL C
    .language_version:
      - 2
      - 0
    .max_flat_workgroup_size: 136
    .name:           fft_rtc_back_len1768_factors_17_13_8_wgs_136_tpt_136_halfLds_dp_op_CI_CI_unitstride_sbrr_dirReg
    .private_segment_fixed_size: 0
    .sgpr_count:     62
    .sgpr_spill_count: 0
    .symbol:         fft_rtc_back_len1768_factors_17_13_8_wgs_136_tpt_136_halfLds_dp_op_CI_CI_unitstride_sbrr_dirReg.kd
    .uniform_work_group_size: 1
    .uses_dynamic_stack: false
    .vgpr_count:     211
    .vgpr_spill_count: 0
    .wavefront_size: 32
    .workgroup_processor_mode: 1
amdhsa.target:   amdgcn-amd-amdhsa--gfx1100
amdhsa.version:
  - 1
  - 2
...

	.end_amdgpu_metadata
